;; amdgpu-corpus repo=ROCm/rocSPARSE kind=compiled arch=gfx1250 opt=O3
	.amdgcn_target "amdgcn-amd-amdhsa--gfx1250"
	.amdhsa_code_object_version 6
	.section	.text._ZN9rocsparseL31bsrmm_large_blockdim_kernel_extILj8ELj8ELj2EiiffffEEvb20rocsparse_direction_T3_S2_llNS_24const_host_device_scalarIT7_EEPKT2_PKS2_PKT4_S2_PKT5_llS5_PT6_ll16rocsparse_order_21rocsparse_index_base_b,"axG",@progbits,_ZN9rocsparseL31bsrmm_large_blockdim_kernel_extILj8ELj8ELj2EiiffffEEvb20rocsparse_direction_T3_S2_llNS_24const_host_device_scalarIT7_EEPKT2_PKS2_PKT4_S2_PKT5_llS5_PT6_ll16rocsparse_order_21rocsparse_index_base_b,comdat
	.globl	_ZN9rocsparseL31bsrmm_large_blockdim_kernel_extILj8ELj8ELj2EiiffffEEvb20rocsparse_direction_T3_S2_llNS_24const_host_device_scalarIT7_EEPKT2_PKS2_PKT4_S2_PKT5_llS5_PT6_ll16rocsparse_order_21rocsparse_index_base_b ; -- Begin function _ZN9rocsparseL31bsrmm_large_blockdim_kernel_extILj8ELj8ELj2EiiffffEEvb20rocsparse_direction_T3_S2_llNS_24const_host_device_scalarIT7_EEPKT2_PKS2_PKT4_S2_PKT5_llS5_PT6_ll16rocsparse_order_21rocsparse_index_base_b
	.p2align	8
	.type	_ZN9rocsparseL31bsrmm_large_blockdim_kernel_extILj8ELj8ELj2EiiffffEEvb20rocsparse_direction_T3_S2_llNS_24const_host_device_scalarIT7_EEPKT2_PKS2_PKT4_S2_PKT5_llS5_PT6_ll16rocsparse_order_21rocsparse_index_base_b,@function
_ZN9rocsparseL31bsrmm_large_blockdim_kernel_extILj8ELj8ELj2EiiffffEEvb20rocsparse_direction_T3_S2_llNS_24const_host_device_scalarIT7_EEPKT2_PKS2_PKT4_S2_PKT5_llS5_PT6_ll16rocsparse_order_21rocsparse_index_base_b: ; @_ZN9rocsparseL31bsrmm_large_blockdim_kernel_extILj8ELj8ELj2EiiffffEEvb20rocsparse_direction_T3_S2_llNS_24const_host_device_scalarIT7_EEPKT2_PKS2_PKT4_S2_PKT5_llS5_PT6_ll16rocsparse_order_21rocsparse_index_base_b
; %bb.0:
	s_clause 0x2
	s_load_b96 s[20:22], s[0:1], 0x80
	s_load_b64 s[6:7], s[0:1], 0x20
	s_load_b64 s[24:25], s[0:1], 0x60
	s_wait_kmcnt 0x0
	s_bitcmp1_b32 s22, 0
	s_cselect_b32 s2, -1, 0
	s_delay_alu instid0(SALU_CYCLE_1)
	s_and_b32 vcc_lo, exec_lo, s2
	s_xor_b32 s2, s2, -1
	s_cbranch_vccnz .LBB0_2
; %bb.1:
	s_load_b32 s6, s[6:7], 0x0
.LBB0_2:
	s_and_not1_b32 vcc_lo, exec_lo, s2
	s_cbranch_vccnz .LBB0_4
; %bb.3:
	s_load_b32 s24, s[24:25], 0x0
.LBB0_4:
	s_wait_kmcnt 0x0
	s_cmp_eq_f32 s6, 0
	s_mov_b32 s26, 0
	s_cselect_b32 s2, -1, 0
	s_cmp_eq_f32 s24, 1.0
	s_cselect_b32 s3, -1, 0
	s_delay_alu instid0(SALU_CYCLE_1) | instskip(NEXT) | instid1(SALU_CYCLE_1)
	s_and_b32 s2, s2, s3
	s_and_b32 vcc_lo, exec_lo, s2
	s_cbranch_vccnz .LBB0_48
; %bb.5:
	s_clause 0x1
	s_load_b128 s[8:11], s[0:1], 0x0
	s_load_b64 s[2:3], s[0:1], 0x28
	s_bfe_u32 s4, ttmp6, 0x4000c
	s_and_b32 s5, ttmp6, 15
	s_add_co_i32 s4, s4, 1
	s_delay_alu instid0(SALU_CYCLE_1)
	s_mul_i32 s7, ttmp9, s4
	s_getreg_b32 s4, hwreg(HW_REG_IB_STS2, 6, 4)
	s_add_co_i32 s5, s5, s7
	s_cmp_eq_u32 s4, 0
	s_cselect_b32 s22, ttmp9, s5
	s_wait_kmcnt 0x0
	s_cmp_lt_i32 s22, s10
	s_cselect_b32 s7, -1, 0
	s_cmp_ge_i32 s22, s10
	s_cbranch_scc1 .LBB0_7
; %bb.6:
	s_ashr_i32 s23, s22, 31
	s_delay_alu instid0(SALU_CYCLE_1) | instskip(NEXT) | instid1(SALU_CYCLE_1)
	s_lshl_b64 s[12:13], s[22:23], 2
	s_add_nc_u64 s[12:13], s[2:3], s[12:13]
	s_load_b32 s5, s[12:13], 0x0
	s_wait_kmcnt 0x0
	s_sub_co_i32 s26, s5, s21
.LBB0_7:
	s_and_not1_b32 vcc_lo, exec_lo, s7
	s_mov_b32 s23, 0
	s_cbranch_vccnz .LBB0_9
; %bb.8:
	s_ashr_i32 s23, s22, 31
	s_delay_alu instid0(SALU_CYCLE_1) | instskip(NEXT) | instid1(SALU_CYCLE_1)
	s_lshl_b64 s[12:13], s[22:23], 2
	s_add_nc_u64 s[2:3], s[2:3], s[12:13]
	s_load_b32 s2, s[2:3], 0x4
	s_wait_kmcnt 0x0
	s_sub_co_i32 s23, s2, s21
.LBB0_9:
	s_bfe_u32 s2, ttmp6, 0x40010
	s_bfe_u32 s3, ttmp6, 0x40004
	s_add_co_i32 s2, s2, 1
	s_load_b32 s10, s[0:1], 0x40
	s_mul_i32 s2, ttmp7, s2
	v_bfe_u32 v2, v0, 10, 10
	s_add_co_i32 s3, s3, s2
	s_cmp_eq_u32 s4, 0
	v_and_b32_e32 v14, 0x3ff, v0
	s_cselect_b32 s2, ttmp7, s3
	s_cmp_ge_i32 s26, s23
	v_lshl_add_u32 v4, s2, 4, v2
	s_delay_alu instid0(VALU_DEP_1) | instskip(SKIP_1) | instid1(VALU_DEP_2)
	v_add_nc_u32_e32 v0, 8, v4
	v_cmp_gt_i32_e64 s2, s11, v4
	v_cmp_gt_i32_e64 s3, s11, v0
	s_wait_kmcnt 0x0
	v_cmp_gt_i32_e32 vcc_lo, s10, v14
	s_cbranch_scc1 .LBB0_27
; %bb.10:
	s_clause 0x1
	s_load_b128 s[12:15], s[0:1], 0x48
	s_load_b128 s[16:19], s[0:1], 0x30
	v_dual_ashrrev_i32 v5, 31, v4 :: v_dual_lshlrev_b32 v15, 5, v2
	v_dual_ashrrev_i32 v1, 31, v0 :: v_dual_lshlrev_b32 v12, 5, v14
	v_cmp_gt_i32_e64 s4, s10, v2
	v_mad_u32 v3, s10, v2, v14
	v_mad_u32 v10, s10, v14, v2
	v_lshl_add_u32 v11, v2, 2, 0x200
	v_lshlrev_b32_e32 v13, 2, v14
	s_and_b32 s25, vcc_lo, s4
	s_bitcmp1_b32 s8, 0
	v_add_nc_u32_e32 v17, 0x200, v12
	s_cselect_b32 s4, -1, 0
	s_cmp_eq_u32 s9, 0
	v_add_nc_u32_e32 v20, v11, v12
	s_cselect_b32 s5, -1, 0
	v_add_nc_u32_e32 v18, 0x100, v15
	v_dual_cndmask_b32 v16, v3, v10, s5 :: v_dual_add_nc_u32 v19, v13, v15
	s_wait_kmcnt 0x0
	v_mul_u64_e32 v[6:7], s[14:15], v[4:5]
	v_mul_u64_e32 v[8:9], s[14:15], v[0:1]
	v_mov_b64_e32 v[2:3], 0
	s_mul_i32 s5, s10, s10
	s_branch .LBB0_13
.LBB0_11:                               ;   in Loop: Header=BB0_13 Depth=1
	s_or_b32 exec_lo, exec_lo, s9
.LBB0_12:                               ;   in Loop: Header=BB0_13 Depth=1
	s_delay_alu instid0(SALU_CYCLE_1) | instskip(SKIP_1) | instid1(SALU_CYCLE_1)
	s_or_b32 exec_lo, exec_lo, s8
	s_add_co_i32 s26, s26, 1
	s_cmp_ge_i32 s26, s23
	s_barrier_signal -1
	s_barrier_wait -1
	s_cbranch_scc1 .LBB0_28
.LBB0_13:                               ; =>This Loop Header: Depth=1
                                        ;     Child Loop BB0_23 Depth 2
                                        ;     Child Loop BB0_26 Depth 2
	s_and_saveexec_b32 s8, vcc_lo
	s_cbranch_execz .LBB0_18
; %bb.14:                               ;   in Loop: Header=BB0_13 Depth=1
	s_ashr_i32 s27, s26, 31
	s_delay_alu instid0(SALU_CYCLE_1) | instskip(NEXT) | instid1(SALU_CYCLE_1)
	s_lshl_b64 s[28:29], s[26:27], 2
	s_add_nc_u64 s[28:29], s[16:17], s[28:29]
	s_load_b32 s9, s[28:29], 0x0
	s_wait_kmcnt 0x0
	s_sub_co_i32 s9, s9, s21
	s_delay_alu instid0(SALU_CYCLE_1) | instskip(NEXT) | instid1(VALU_DEP_1)
	v_mad_u32 v12, s9, s10, v14
	v_ashrrev_i32_e32 v13, 31, v12
	s_delay_alu instid0(VALU_DEP_1) | instskip(SKIP_1) | instid1(VALU_DEP_2)
	v_mul_u64_e32 v[10:11], s[14:15], v[12:13]
	v_lshl_add_u64 v[12:13], v[12:13], 2, s[12:13]
	v_lshl_add_u64 v[10:11], v[10:11], 2, s[12:13]
	s_and_saveexec_b32 s9, s2
	s_cbranch_execz .LBB0_16
; %bb.15:                               ;   in Loop: Header=BB0_13 Depth=1
	s_delay_alu instid0(VALU_DEP_1) | instskip(SKIP_1) | instid1(VALU_DEP_1)
	v_lshl_add_u64 v[22:23], v[4:5], 2, v[10:11]
	v_lshl_add_u64 v[24:25], v[6:7], 2, v[12:13]
	v_dual_cndmask_b32 v23, v23, v25, s4 :: v_dual_cndmask_b32 v22, v22, v24, s4
	global_load_b32 v21, v[22:23], off
	s_wait_loadcnt 0x0
	ds_store_b32 v19, v21
.LBB0_16:                               ;   in Loop: Header=BB0_13 Depth=1
	s_or_b32 exec_lo, exec_lo, s9
	s_delay_alu instid0(SALU_CYCLE_1)
	s_and_b32 exec_lo, exec_lo, s3
	s_cbranch_execz .LBB0_18
; %bb.17:                               ;   in Loop: Header=BB0_13 Depth=1
	v_lshl_add_u64 v[12:13], v[8:9], 2, v[12:13]
	v_lshl_add_u64 v[10:11], v[0:1], 2, v[10:11]
	s_delay_alu instid0(VALU_DEP_1)
	v_dual_cndmask_b32 v11, v11, v13, s4 :: v_dual_cndmask_b32 v10, v10, v12, s4
	global_load_b32 v10, v[10:11], off
	s_wait_loadcnt 0x0
	ds_store_b32 v19, v10 offset:256
.LBB0_18:                               ;   in Loop: Header=BB0_13 Depth=1
	s_or_b32 exec_lo, exec_lo, s8
	s_and_saveexec_b32 s8, s25
	s_cbranch_execz .LBB0_20
; %bb.19:                               ;   in Loop: Header=BB0_13 Depth=1
	v_mad_u32 v10, s5, s26, v16
	global_load_b32 v10, v10, s[18:19] scale_offset
	s_wait_loadcnt 0x0
	ds_store_b32 v20, v10
.LBB0_20:                               ;   in Loop: Header=BB0_13 Depth=1
	s_or_b32 exec_lo, exec_lo, s8
	s_wait_dscnt 0x0
	s_barrier_signal -1
	s_barrier_wait -1
	s_and_saveexec_b32 s8, vcc_lo
	s_cbranch_execz .LBB0_12
; %bb.21:                               ;   in Loop: Header=BB0_13 Depth=1
	s_and_saveexec_b32 s9, s2
	s_cbranch_execz .LBB0_24
; %bb.22:                               ;   in Loop: Header=BB0_13 Depth=1
	v_dual_mov_b32 v10, v17 :: v_dual_mov_b32 v11, v15
	s_mov_b32 s27, s10
.LBB0_23:                               ;   Parent Loop BB0_13 Depth=1
                                        ; =>  This Inner Loop Header: Depth=2
	ds_load_b32 v12, v10
	ds_load_b32 v13, v11
	v_dual_add_nc_u32 v11, 4, v11 :: v_dual_add_nc_u32 v10, 4, v10
	s_add_co_i32 s27, s27, -1
	s_delay_alu instid0(SALU_CYCLE_1)
	s_cmp_lg_u32 s27, 0
	s_wait_dscnt 0x0
	v_fma_f32 v2, v12, v13, v2
	s_cbranch_scc1 .LBB0_23
.LBB0_24:                               ;   in Loop: Header=BB0_13 Depth=1
	s_or_b32 exec_lo, exec_lo, s9
	s_and_saveexec_b32 s9, s3
	s_cbranch_execz .LBB0_11
; %bb.25:                               ;   in Loop: Header=BB0_13 Depth=1
	v_dual_mov_b32 v10, v17 :: v_dual_mov_b32 v11, v18
	s_mov_b32 s27, s10
.LBB0_26:                               ;   Parent Loop BB0_13 Depth=1
                                        ; =>  This Inner Loop Header: Depth=2
	ds_load_b32 v12, v10
	ds_load_b32 v13, v11
	v_dual_add_nc_u32 v11, 4, v11 :: v_dual_add_nc_u32 v10, 4, v10
	s_add_co_i32 s27, s27, -1
	s_delay_alu instid0(SALU_CYCLE_1)
	s_cmp_lg_u32 s27, 0
	s_wait_dscnt 0x0
	v_fma_f32 v3, v12, v13, v3
	s_cbranch_scc1 .LBB0_26
	s_branch .LBB0_11
.LBB0_27:
	v_mov_b64_e32 v[2:3], 0
.LBB0_28:
	s_load_b64 s[4:5], s[0:1], 0x68
	s_and_b32 s2, s7, vcc_lo
	s_delay_alu instid0(SALU_CYCLE_1)
	s_and_saveexec_b32 s3, s2
	s_cbranch_execz .LBB0_48
; %bb.29:
	s_load_b64 s[2:3], s[0:1], 0x70
	v_mad_u32 v6, s10, s22, v14
	s_cmp_neq_f32 s24, 0
	s_wait_xcnt 0x0
	s_mov_b32 s0, exec_lo
	s_cselect_b32 s7, -1, 0
	s_cmp_lg_u32 s20, 1
	s_cselect_b32 s1, -1, 0
	s_delay_alu instid0(VALU_DEP_1) | instskip(SKIP_1) | instid1(VALU_DEP_1)
	v_ashrrev_i32_e32 v7, 31, v6
	s_wait_kmcnt 0x0
	v_mul_u64_e32 v[8:9], s[2:3], v[6:7]
	v_lshl_add_u64 v[6:7], v[6:7], 2, s[4:5]
	s_delay_alu instid0(VALU_DEP_2)
	v_lshl_add_u64 v[8:9], v[8:9], 2, s[4:5]
	v_cmpx_gt_i32_e64 s11, v4
	s_cbranch_execz .LBB0_41
; %bb.30:
	v_ashrrev_i32_e32 v5, 31, v4
	s_and_b32 vcc_lo, exec_lo, s7
	s_cbranch_vccz .LBB0_36
; %bb.31:
	s_and_b32 vcc_lo, exec_lo, s1
	s_mov_b32 s4, -1
	s_cbranch_vccz .LBB0_33
; %bb.32:
	v_lshl_add_u64 v[10:11], v[4:5], 2, v[8:9]
	v_mul_f32_e32 v12, s6, v2
	s_mov_b32 s4, 0
	global_load_b32 v1, v[10:11], off
	s_wait_loadcnt 0x0
	v_fmac_f32_e32 v12, s24, v1
	global_store_b32 v[10:11], v12, off
.LBB0_33:
	s_and_not1_b32 vcc_lo, exec_lo, s4
	s_cbranch_vccnz .LBB0_35
; %bb.34:
	s_wait_xcnt 0x0
	v_mul_u64_e32 v[10:11], s[2:3], v[4:5]
	v_mul_f32_e32 v12, s6, v2
	s_delay_alu instid0(VALU_DEP_2)
	v_lshl_add_u64 v[10:11], v[10:11], 2, v[6:7]
	global_load_b32 v1, v[10:11], off
	s_wait_loadcnt 0x0
	v_fmac_f32_e32 v12, s24, v1
	global_store_b32 v[10:11], v12, off
.LBB0_35:
	s_cbranch_execz .LBB0_37
	s_branch .LBB0_41
.LBB0_36:
.LBB0_37:
	v_mul_f32_e32 v1, s6, v2
	s_and_b32 vcc_lo, exec_lo, s1
	s_mov_b32 s4, -1
	s_cbranch_vccz .LBB0_39
; %bb.38:
	s_wait_xcnt 0x0
	v_lshl_add_u64 v[10:11], v[4:5], 2, v[8:9]
	s_mov_b32 s4, 0
	global_store_b32 v[10:11], v1, off
.LBB0_39:
	s_and_not1_b32 vcc_lo, exec_lo, s4
	s_cbranch_vccnz .LBB0_41
; %bb.40:
	v_mul_u64_e32 v[4:5], s[2:3], v[4:5]
	s_delay_alu instid0(VALU_DEP_1)
	v_lshl_add_u64 v[4:5], v[4:5], 2, v[6:7]
	global_store_b32 v[4:5], v1, off
.LBB0_41:
	s_wait_xcnt 0x0
	s_or_b32 exec_lo, exec_lo, s0
	v_cmp_gt_i32_e32 vcc_lo, s11, v0
	s_and_b32 exec_lo, exec_lo, vcc_lo
	s_cbranch_execz .LBB0_48
; %bb.42:
	v_cndmask_b32_e64 v2, 0, 1, s1
	v_ashrrev_i32_e32 v1, 31, v0
	s_and_not1_b32 vcc_lo, exec_lo, s7
	s_delay_alu instid0(VALU_DEP_2)
	v_cmp_ne_u32_e64 s0, 1, v2
	s_cbranch_vccnz .LBB0_49
; %bb.43:
	s_and_b32 vcc_lo, exec_lo, s0
	s_mov_b32 s0, -1
	s_cbranch_vccnz .LBB0_45
; %bb.44:
	v_lshl_add_u64 v[4:5], v[0:1], 2, v[8:9]
	v_mul_f32_e32 v10, s6, v3
	s_mov_b32 s0, 0
	global_load_b32 v2, v[4:5], off
	s_wait_loadcnt 0x0
	v_fmac_f32_e32 v10, s24, v2
	global_store_b32 v[4:5], v10, off
.LBB0_45:
	s_and_not1_b32 vcc_lo, exec_lo, s0
	s_cbranch_vccnz .LBB0_47
; %bb.46:
	s_wait_xcnt 0x0
	v_mul_u64_e32 v[4:5], s[2:3], v[0:1]
	v_mul_f32_e32 v10, s6, v3
	s_delay_alu instid0(VALU_DEP_2)
	v_lshl_add_u64 v[4:5], v[4:5], 2, v[6:7]
	global_load_b32 v2, v[4:5], off
	s_wait_loadcnt 0x0
	v_fmac_f32_e32 v10, s24, v2
	global_store_b32 v[4:5], v10, off
.LBB0_47:
	s_cbranch_execz .LBB0_50
.LBB0_48:
	s_endpgm
.LBB0_49:
.LBB0_50:
	v_mul_f32_e32 v2, s6, v3
	s_and_not1_b32 vcc_lo, exec_lo, s1
	s_mov_b32 s0, -1
	s_cbranch_vccnz .LBB0_52
; %bb.51:
	s_wait_xcnt 0x0
	v_lshl_add_u64 v[4:5], v[0:1], 2, v[8:9]
	s_mov_b32 s0, 0
	global_store_b32 v[4:5], v2, off
.LBB0_52:
	s_and_not1_b32 vcc_lo, exec_lo, s0
	s_cbranch_vccnz .LBB0_48
; %bb.53:
	v_mul_u64_e32 v[0:1], s[2:3], v[0:1]
	s_delay_alu instid0(VALU_DEP_1)
	v_lshl_add_u64 v[0:1], v[0:1], 2, v[6:7]
	global_store_b32 v[0:1], v2, off
	s_endpgm
	.section	.rodata,"a",@progbits
	.p2align	6, 0x0
	.amdhsa_kernel _ZN9rocsparseL31bsrmm_large_blockdim_kernel_extILj8ELj8ELj2EiiffffEEvb20rocsparse_direction_T3_S2_llNS_24const_host_device_scalarIT7_EEPKT2_PKS2_PKT4_S2_PKT5_llS5_PT6_ll16rocsparse_order_21rocsparse_index_base_b
		.amdhsa_group_segment_fixed_size 768
		.amdhsa_private_segment_fixed_size 0
		.amdhsa_kernarg_size 140
		.amdhsa_user_sgpr_count 2
		.amdhsa_user_sgpr_dispatch_ptr 0
		.amdhsa_user_sgpr_queue_ptr 0
		.amdhsa_user_sgpr_kernarg_segment_ptr 1
		.amdhsa_user_sgpr_dispatch_id 0
		.amdhsa_user_sgpr_kernarg_preload_length 0
		.amdhsa_user_sgpr_kernarg_preload_offset 0
		.amdhsa_user_sgpr_private_segment_size 0
		.amdhsa_wavefront_size32 1
		.amdhsa_uses_dynamic_stack 0
		.amdhsa_enable_private_segment 0
		.amdhsa_system_sgpr_workgroup_id_x 1
		.amdhsa_system_sgpr_workgroup_id_y 1
		.amdhsa_system_sgpr_workgroup_id_z 0
		.amdhsa_system_sgpr_workgroup_info 0
		.amdhsa_system_vgpr_workitem_id 1
		.amdhsa_next_free_vgpr 26
		.amdhsa_next_free_sgpr 30
		.amdhsa_named_barrier_count 0
		.amdhsa_reserve_vcc 1
		.amdhsa_float_round_mode_32 0
		.amdhsa_float_round_mode_16_64 0
		.amdhsa_float_denorm_mode_32 3
		.amdhsa_float_denorm_mode_16_64 3
		.amdhsa_fp16_overflow 0
		.amdhsa_memory_ordered 1
		.amdhsa_forward_progress 1
		.amdhsa_inst_pref_size 13
		.amdhsa_round_robin_scheduling 0
		.amdhsa_exception_fp_ieee_invalid_op 0
		.amdhsa_exception_fp_denorm_src 0
		.amdhsa_exception_fp_ieee_div_zero 0
		.amdhsa_exception_fp_ieee_overflow 0
		.amdhsa_exception_fp_ieee_underflow 0
		.amdhsa_exception_fp_ieee_inexact 0
		.amdhsa_exception_int_div_zero 0
	.end_amdhsa_kernel
	.section	.text._ZN9rocsparseL31bsrmm_large_blockdim_kernel_extILj8ELj8ELj2EiiffffEEvb20rocsparse_direction_T3_S2_llNS_24const_host_device_scalarIT7_EEPKT2_PKS2_PKT4_S2_PKT5_llS5_PT6_ll16rocsparse_order_21rocsparse_index_base_b,"axG",@progbits,_ZN9rocsparseL31bsrmm_large_blockdim_kernel_extILj8ELj8ELj2EiiffffEEvb20rocsparse_direction_T3_S2_llNS_24const_host_device_scalarIT7_EEPKT2_PKS2_PKT4_S2_PKT5_llS5_PT6_ll16rocsparse_order_21rocsparse_index_base_b,comdat
.Lfunc_end0:
	.size	_ZN9rocsparseL31bsrmm_large_blockdim_kernel_extILj8ELj8ELj2EiiffffEEvb20rocsparse_direction_T3_S2_llNS_24const_host_device_scalarIT7_EEPKT2_PKS2_PKT4_S2_PKT5_llS5_PT6_ll16rocsparse_order_21rocsparse_index_base_b, .Lfunc_end0-_ZN9rocsparseL31bsrmm_large_blockdim_kernel_extILj8ELj8ELj2EiiffffEEvb20rocsparse_direction_T3_S2_llNS_24const_host_device_scalarIT7_EEPKT2_PKS2_PKT4_S2_PKT5_llS5_PT6_ll16rocsparse_order_21rocsparse_index_base_b
                                        ; -- End function
	.set _ZN9rocsparseL31bsrmm_large_blockdim_kernel_extILj8ELj8ELj2EiiffffEEvb20rocsparse_direction_T3_S2_llNS_24const_host_device_scalarIT7_EEPKT2_PKS2_PKT4_S2_PKT5_llS5_PT6_ll16rocsparse_order_21rocsparse_index_base_b.num_vgpr, 26
	.set _ZN9rocsparseL31bsrmm_large_blockdim_kernel_extILj8ELj8ELj2EiiffffEEvb20rocsparse_direction_T3_S2_llNS_24const_host_device_scalarIT7_EEPKT2_PKS2_PKT4_S2_PKT5_llS5_PT6_ll16rocsparse_order_21rocsparse_index_base_b.num_agpr, 0
	.set _ZN9rocsparseL31bsrmm_large_blockdim_kernel_extILj8ELj8ELj2EiiffffEEvb20rocsparse_direction_T3_S2_llNS_24const_host_device_scalarIT7_EEPKT2_PKS2_PKT4_S2_PKT5_llS5_PT6_ll16rocsparse_order_21rocsparse_index_base_b.numbered_sgpr, 30
	.set _ZN9rocsparseL31bsrmm_large_blockdim_kernel_extILj8ELj8ELj2EiiffffEEvb20rocsparse_direction_T3_S2_llNS_24const_host_device_scalarIT7_EEPKT2_PKS2_PKT4_S2_PKT5_llS5_PT6_ll16rocsparse_order_21rocsparse_index_base_b.num_named_barrier, 0
	.set _ZN9rocsparseL31bsrmm_large_blockdim_kernel_extILj8ELj8ELj2EiiffffEEvb20rocsparse_direction_T3_S2_llNS_24const_host_device_scalarIT7_EEPKT2_PKS2_PKT4_S2_PKT5_llS5_PT6_ll16rocsparse_order_21rocsparse_index_base_b.private_seg_size, 0
	.set _ZN9rocsparseL31bsrmm_large_blockdim_kernel_extILj8ELj8ELj2EiiffffEEvb20rocsparse_direction_T3_S2_llNS_24const_host_device_scalarIT7_EEPKT2_PKS2_PKT4_S2_PKT5_llS5_PT6_ll16rocsparse_order_21rocsparse_index_base_b.uses_vcc, 1
	.set _ZN9rocsparseL31bsrmm_large_blockdim_kernel_extILj8ELj8ELj2EiiffffEEvb20rocsparse_direction_T3_S2_llNS_24const_host_device_scalarIT7_EEPKT2_PKS2_PKT4_S2_PKT5_llS5_PT6_ll16rocsparse_order_21rocsparse_index_base_b.uses_flat_scratch, 0
	.set _ZN9rocsparseL31bsrmm_large_blockdim_kernel_extILj8ELj8ELj2EiiffffEEvb20rocsparse_direction_T3_S2_llNS_24const_host_device_scalarIT7_EEPKT2_PKS2_PKT4_S2_PKT5_llS5_PT6_ll16rocsparse_order_21rocsparse_index_base_b.has_dyn_sized_stack, 0
	.set _ZN9rocsparseL31bsrmm_large_blockdim_kernel_extILj8ELj8ELj2EiiffffEEvb20rocsparse_direction_T3_S2_llNS_24const_host_device_scalarIT7_EEPKT2_PKS2_PKT4_S2_PKT5_llS5_PT6_ll16rocsparse_order_21rocsparse_index_base_b.has_recursion, 0
	.set _ZN9rocsparseL31bsrmm_large_blockdim_kernel_extILj8ELj8ELj2EiiffffEEvb20rocsparse_direction_T3_S2_llNS_24const_host_device_scalarIT7_EEPKT2_PKS2_PKT4_S2_PKT5_llS5_PT6_ll16rocsparse_order_21rocsparse_index_base_b.has_indirect_call, 0
	.section	.AMDGPU.csdata,"",@progbits
; Kernel info:
; codeLenInByte = 1628
; TotalNumSgprs: 32
; NumVgprs: 26
; ScratchSize: 0
; MemoryBound: 0
; FloatMode: 240
; IeeeMode: 1
; LDSByteSize: 768 bytes/workgroup (compile time only)
; SGPRBlocks: 0
; VGPRBlocks: 1
; NumSGPRsForWavesPerEU: 32
; NumVGPRsForWavesPerEU: 26
; NamedBarCnt: 0
; Occupancy: 16
; WaveLimiterHint : 1
; COMPUTE_PGM_RSRC2:SCRATCH_EN: 0
; COMPUTE_PGM_RSRC2:USER_SGPR: 2
; COMPUTE_PGM_RSRC2:TRAP_HANDLER: 0
; COMPUTE_PGM_RSRC2:TGID_X_EN: 1
; COMPUTE_PGM_RSRC2:TGID_Y_EN: 1
; COMPUTE_PGM_RSRC2:TGID_Z_EN: 0
; COMPUTE_PGM_RSRC2:TIDIG_COMP_CNT: 1
	.section	.text._ZN9rocsparseL31bsrmm_large_blockdim_kernel_extILj4ELj16ELj2EiiffffEEvb20rocsparse_direction_T3_S2_llNS_24const_host_device_scalarIT7_EEPKT2_PKS2_PKT4_S2_PKT5_llS5_PT6_ll16rocsparse_order_21rocsparse_index_base_b,"axG",@progbits,_ZN9rocsparseL31bsrmm_large_blockdim_kernel_extILj4ELj16ELj2EiiffffEEvb20rocsparse_direction_T3_S2_llNS_24const_host_device_scalarIT7_EEPKT2_PKS2_PKT4_S2_PKT5_llS5_PT6_ll16rocsparse_order_21rocsparse_index_base_b,comdat
	.globl	_ZN9rocsparseL31bsrmm_large_blockdim_kernel_extILj4ELj16ELj2EiiffffEEvb20rocsparse_direction_T3_S2_llNS_24const_host_device_scalarIT7_EEPKT2_PKS2_PKT4_S2_PKT5_llS5_PT6_ll16rocsparse_order_21rocsparse_index_base_b ; -- Begin function _ZN9rocsparseL31bsrmm_large_blockdim_kernel_extILj4ELj16ELj2EiiffffEEvb20rocsparse_direction_T3_S2_llNS_24const_host_device_scalarIT7_EEPKT2_PKS2_PKT4_S2_PKT5_llS5_PT6_ll16rocsparse_order_21rocsparse_index_base_b
	.p2align	8
	.type	_ZN9rocsparseL31bsrmm_large_blockdim_kernel_extILj4ELj16ELj2EiiffffEEvb20rocsparse_direction_T3_S2_llNS_24const_host_device_scalarIT7_EEPKT2_PKS2_PKT4_S2_PKT5_llS5_PT6_ll16rocsparse_order_21rocsparse_index_base_b,@function
_ZN9rocsparseL31bsrmm_large_blockdim_kernel_extILj4ELj16ELj2EiiffffEEvb20rocsparse_direction_T3_S2_llNS_24const_host_device_scalarIT7_EEPKT2_PKS2_PKT4_S2_PKT5_llS5_PT6_ll16rocsparse_order_21rocsparse_index_base_b: ; @_ZN9rocsparseL31bsrmm_large_blockdim_kernel_extILj4ELj16ELj2EiiffffEEvb20rocsparse_direction_T3_S2_llNS_24const_host_device_scalarIT7_EEPKT2_PKS2_PKT4_S2_PKT5_llS5_PT6_ll16rocsparse_order_21rocsparse_index_base_b
; %bb.0:
	s_clause 0x2
	s_load_b96 s[20:22], s[0:1], 0x80
	s_load_b64 s[6:7], s[0:1], 0x20
	s_load_b64 s[24:25], s[0:1], 0x60
	s_wait_kmcnt 0x0
	s_bitcmp1_b32 s22, 0
	s_cselect_b32 s2, -1, 0
	s_delay_alu instid0(SALU_CYCLE_1)
	s_and_b32 vcc_lo, exec_lo, s2
	s_xor_b32 s2, s2, -1
	s_cbranch_vccnz .LBB1_2
; %bb.1:
	s_load_b32 s6, s[6:7], 0x0
.LBB1_2:
	s_and_not1_b32 vcc_lo, exec_lo, s2
	s_cbranch_vccnz .LBB1_4
; %bb.3:
	s_load_b32 s24, s[24:25], 0x0
.LBB1_4:
	s_wait_kmcnt 0x0
	s_cmp_eq_f32 s6, 0
	s_mov_b32 s26, 0
	s_cselect_b32 s2, -1, 0
	s_cmp_eq_f32 s24, 1.0
	s_cselect_b32 s3, -1, 0
	s_delay_alu instid0(SALU_CYCLE_1) | instskip(NEXT) | instid1(SALU_CYCLE_1)
	s_and_b32 s2, s2, s3
	s_and_b32 vcc_lo, exec_lo, s2
	s_cbranch_vccnz .LBB1_48
; %bb.5:
	s_clause 0x1
	s_load_b128 s[8:11], s[0:1], 0x0
	s_load_b64 s[2:3], s[0:1], 0x28
	s_bfe_u32 s4, ttmp6, 0x4000c
	s_and_b32 s5, ttmp6, 15
	s_add_co_i32 s4, s4, 1
	s_delay_alu instid0(SALU_CYCLE_1)
	s_mul_i32 s7, ttmp9, s4
	s_getreg_b32 s4, hwreg(HW_REG_IB_STS2, 6, 4)
	s_add_co_i32 s5, s5, s7
	s_cmp_eq_u32 s4, 0
	s_cselect_b32 s22, ttmp9, s5
	s_wait_kmcnt 0x0
	s_cmp_lt_i32 s22, s10
	s_cselect_b32 s7, -1, 0
	s_cmp_ge_i32 s22, s10
	s_cbranch_scc1 .LBB1_7
; %bb.6:
	s_ashr_i32 s23, s22, 31
	s_delay_alu instid0(SALU_CYCLE_1) | instskip(NEXT) | instid1(SALU_CYCLE_1)
	s_lshl_b64 s[12:13], s[22:23], 2
	s_add_nc_u64 s[12:13], s[2:3], s[12:13]
	s_load_b32 s5, s[12:13], 0x0
	s_wait_kmcnt 0x0
	s_sub_co_i32 s26, s5, s21
.LBB1_7:
	s_and_not1_b32 vcc_lo, exec_lo, s7
	s_mov_b32 s23, 0
	s_cbranch_vccnz .LBB1_9
; %bb.8:
	s_ashr_i32 s23, s22, 31
	s_delay_alu instid0(SALU_CYCLE_1) | instskip(NEXT) | instid1(SALU_CYCLE_1)
	s_lshl_b64 s[12:13], s[22:23], 2
	s_add_nc_u64 s[2:3], s[2:3], s[12:13]
	s_load_b32 s2, s[2:3], 0x4
	s_wait_kmcnt 0x0
	s_sub_co_i32 s23, s2, s21
.LBB1_9:
	s_bfe_u32 s2, ttmp6, 0x40010
	s_bfe_u32 s3, ttmp6, 0x40004
	s_add_co_i32 s2, s2, 1
	s_load_b32 s10, s[0:1], 0x40
	s_mul_i32 s2, ttmp7, s2
	v_bfe_u32 v2, v0, 10, 10
	s_add_co_i32 s3, s3, s2
	s_cmp_eq_u32 s4, 0
	v_and_b32_e32 v14, 0x3ff, v0
	s_cselect_b32 s2, ttmp7, s3
	s_cmp_ge_i32 s26, s23
	v_lshl_add_u32 v4, s2, 5, v2
	s_delay_alu instid0(VALU_DEP_1) | instskip(SKIP_1) | instid1(VALU_DEP_2)
	v_add_nc_u32_e32 v0, 16, v4
	v_cmp_gt_i32_e64 s2, s11, v4
	v_cmp_gt_i32_e64 s3, s11, v0
	s_wait_kmcnt 0x0
	v_cmp_gt_i32_e32 vcc_lo, s10, v14
	s_cbranch_scc1 .LBB1_27
; %bb.10:
	s_clause 0x1
	s_load_b128 s[12:15], s[0:1], 0x48
	s_load_b128 s[16:19], s[0:1], 0x30
	v_dual_ashrrev_i32 v5, 31, v4 :: v_dual_lshlrev_b32 v15, 4, v2
	v_dual_ashrrev_i32 v1, 31, v0 :: v_dual_lshlrev_b32 v12, 4, v14
	v_cmp_gt_i32_e64 s4, s10, v2
	v_mad_u32 v3, s10, v2, v14
	v_mad_u32 v10, s10, v14, v2
	v_lshl_add_u32 v11, v2, 2, 0x200
	v_lshlrev_b32_e32 v13, 2, v14
	s_and_b32 s25, vcc_lo, s4
	s_bitcmp1_b32 s8, 0
	v_add_nc_u32_e32 v17, 0x200, v12
	s_cselect_b32 s4, -1, 0
	s_cmp_eq_u32 s9, 0
	v_add_nc_u32_e32 v20, v11, v12
	s_cselect_b32 s5, -1, 0
	v_add_nc_u32_e32 v18, 0x100, v15
	v_dual_cndmask_b32 v16, v3, v10, s5 :: v_dual_add_nc_u32 v19, v13, v15
	s_wait_kmcnt 0x0
	v_mul_u64_e32 v[6:7], s[14:15], v[4:5]
	v_mul_u64_e32 v[8:9], s[14:15], v[0:1]
	v_mov_b64_e32 v[2:3], 0
	s_mul_i32 s5, s10, s10
	s_branch .LBB1_13
.LBB1_11:                               ;   in Loop: Header=BB1_13 Depth=1
	s_or_b32 exec_lo, exec_lo, s9
.LBB1_12:                               ;   in Loop: Header=BB1_13 Depth=1
	s_delay_alu instid0(SALU_CYCLE_1) | instskip(SKIP_1) | instid1(SALU_CYCLE_1)
	s_or_b32 exec_lo, exec_lo, s8
	s_add_co_i32 s26, s26, 1
	s_cmp_ge_i32 s26, s23
	s_barrier_signal -1
	s_barrier_wait -1
	s_cbranch_scc1 .LBB1_28
.LBB1_13:                               ; =>This Loop Header: Depth=1
                                        ;     Child Loop BB1_23 Depth 2
                                        ;     Child Loop BB1_26 Depth 2
	s_and_saveexec_b32 s8, vcc_lo
	s_cbranch_execz .LBB1_18
; %bb.14:                               ;   in Loop: Header=BB1_13 Depth=1
	s_ashr_i32 s27, s26, 31
	s_delay_alu instid0(SALU_CYCLE_1) | instskip(NEXT) | instid1(SALU_CYCLE_1)
	s_lshl_b64 s[28:29], s[26:27], 2
	s_add_nc_u64 s[28:29], s[16:17], s[28:29]
	s_load_b32 s9, s[28:29], 0x0
	s_wait_kmcnt 0x0
	s_sub_co_i32 s9, s9, s21
	s_delay_alu instid0(SALU_CYCLE_1) | instskip(NEXT) | instid1(VALU_DEP_1)
	v_mad_u32 v12, s9, s10, v14
	v_ashrrev_i32_e32 v13, 31, v12
	s_delay_alu instid0(VALU_DEP_1) | instskip(SKIP_1) | instid1(VALU_DEP_2)
	v_mul_u64_e32 v[10:11], s[14:15], v[12:13]
	v_lshl_add_u64 v[12:13], v[12:13], 2, s[12:13]
	v_lshl_add_u64 v[10:11], v[10:11], 2, s[12:13]
	s_and_saveexec_b32 s9, s2
	s_cbranch_execz .LBB1_16
; %bb.15:                               ;   in Loop: Header=BB1_13 Depth=1
	s_delay_alu instid0(VALU_DEP_1) | instskip(SKIP_1) | instid1(VALU_DEP_1)
	v_lshl_add_u64 v[22:23], v[4:5], 2, v[10:11]
	v_lshl_add_u64 v[24:25], v[6:7], 2, v[12:13]
	v_dual_cndmask_b32 v23, v23, v25, s4 :: v_dual_cndmask_b32 v22, v22, v24, s4
	global_load_b32 v21, v[22:23], off
	s_wait_loadcnt 0x0
	ds_store_b32 v19, v21
.LBB1_16:                               ;   in Loop: Header=BB1_13 Depth=1
	s_or_b32 exec_lo, exec_lo, s9
	s_delay_alu instid0(SALU_CYCLE_1)
	s_and_b32 exec_lo, exec_lo, s3
	s_cbranch_execz .LBB1_18
; %bb.17:                               ;   in Loop: Header=BB1_13 Depth=1
	v_lshl_add_u64 v[12:13], v[8:9], 2, v[12:13]
	v_lshl_add_u64 v[10:11], v[0:1], 2, v[10:11]
	s_delay_alu instid0(VALU_DEP_1)
	v_dual_cndmask_b32 v11, v11, v13, s4 :: v_dual_cndmask_b32 v10, v10, v12, s4
	global_load_b32 v10, v[10:11], off
	s_wait_loadcnt 0x0
	ds_store_b32 v19, v10 offset:256
.LBB1_18:                               ;   in Loop: Header=BB1_13 Depth=1
	s_or_b32 exec_lo, exec_lo, s8
	s_and_saveexec_b32 s8, s25
	s_cbranch_execz .LBB1_20
; %bb.19:                               ;   in Loop: Header=BB1_13 Depth=1
	v_mad_u32 v10, s5, s26, v16
	global_load_b32 v10, v10, s[18:19] scale_offset
	s_wait_loadcnt 0x0
	ds_store_b32 v20, v10
.LBB1_20:                               ;   in Loop: Header=BB1_13 Depth=1
	s_or_b32 exec_lo, exec_lo, s8
	s_wait_dscnt 0x0
	s_barrier_signal -1
	s_barrier_wait -1
	s_and_saveexec_b32 s8, vcc_lo
	s_cbranch_execz .LBB1_12
; %bb.21:                               ;   in Loop: Header=BB1_13 Depth=1
	s_and_saveexec_b32 s9, s2
	s_cbranch_execz .LBB1_24
; %bb.22:                               ;   in Loop: Header=BB1_13 Depth=1
	v_dual_mov_b32 v10, v17 :: v_dual_mov_b32 v11, v15
	s_mov_b32 s27, s10
.LBB1_23:                               ;   Parent Loop BB1_13 Depth=1
                                        ; =>  This Inner Loop Header: Depth=2
	ds_load_b32 v12, v10
	ds_load_b32 v13, v11
	v_dual_add_nc_u32 v11, 4, v11 :: v_dual_add_nc_u32 v10, 4, v10
	s_add_co_i32 s27, s27, -1
	s_delay_alu instid0(SALU_CYCLE_1)
	s_cmp_lg_u32 s27, 0
	s_wait_dscnt 0x0
	v_fma_f32 v2, v12, v13, v2
	s_cbranch_scc1 .LBB1_23
.LBB1_24:                               ;   in Loop: Header=BB1_13 Depth=1
	s_or_b32 exec_lo, exec_lo, s9
	s_and_saveexec_b32 s9, s3
	s_cbranch_execz .LBB1_11
; %bb.25:                               ;   in Loop: Header=BB1_13 Depth=1
	v_dual_mov_b32 v10, v17 :: v_dual_mov_b32 v11, v18
	s_mov_b32 s27, s10
.LBB1_26:                               ;   Parent Loop BB1_13 Depth=1
                                        ; =>  This Inner Loop Header: Depth=2
	ds_load_b32 v12, v10
	ds_load_b32 v13, v11
	v_dual_add_nc_u32 v11, 4, v11 :: v_dual_add_nc_u32 v10, 4, v10
	s_add_co_i32 s27, s27, -1
	s_delay_alu instid0(SALU_CYCLE_1)
	s_cmp_lg_u32 s27, 0
	s_wait_dscnt 0x0
	v_fma_f32 v3, v12, v13, v3
	s_cbranch_scc1 .LBB1_26
	s_branch .LBB1_11
.LBB1_27:
	v_mov_b64_e32 v[2:3], 0
.LBB1_28:
	s_load_b64 s[4:5], s[0:1], 0x68
	s_and_b32 s2, s7, vcc_lo
	s_delay_alu instid0(SALU_CYCLE_1)
	s_and_saveexec_b32 s3, s2
	s_cbranch_execz .LBB1_48
; %bb.29:
	s_load_b64 s[2:3], s[0:1], 0x70
	v_mad_u32 v6, s10, s22, v14
	s_cmp_neq_f32 s24, 0
	s_wait_xcnt 0x0
	s_mov_b32 s0, exec_lo
	s_cselect_b32 s7, -1, 0
	s_cmp_lg_u32 s20, 1
	s_cselect_b32 s1, -1, 0
	s_delay_alu instid0(VALU_DEP_1) | instskip(SKIP_1) | instid1(VALU_DEP_1)
	v_ashrrev_i32_e32 v7, 31, v6
	s_wait_kmcnt 0x0
	v_mul_u64_e32 v[8:9], s[2:3], v[6:7]
	v_lshl_add_u64 v[6:7], v[6:7], 2, s[4:5]
	s_delay_alu instid0(VALU_DEP_2)
	v_lshl_add_u64 v[8:9], v[8:9], 2, s[4:5]
	v_cmpx_gt_i32_e64 s11, v4
	s_cbranch_execz .LBB1_41
; %bb.30:
	v_ashrrev_i32_e32 v5, 31, v4
	s_and_b32 vcc_lo, exec_lo, s7
	s_cbranch_vccz .LBB1_36
; %bb.31:
	s_and_b32 vcc_lo, exec_lo, s1
	s_mov_b32 s4, -1
	s_cbranch_vccz .LBB1_33
; %bb.32:
	v_lshl_add_u64 v[10:11], v[4:5], 2, v[8:9]
	v_mul_f32_e32 v12, s6, v2
	s_mov_b32 s4, 0
	global_load_b32 v1, v[10:11], off
	s_wait_loadcnt 0x0
	v_fmac_f32_e32 v12, s24, v1
	global_store_b32 v[10:11], v12, off
.LBB1_33:
	s_and_not1_b32 vcc_lo, exec_lo, s4
	s_cbranch_vccnz .LBB1_35
; %bb.34:
	s_wait_xcnt 0x0
	v_mul_u64_e32 v[10:11], s[2:3], v[4:5]
	v_mul_f32_e32 v12, s6, v2
	s_delay_alu instid0(VALU_DEP_2)
	v_lshl_add_u64 v[10:11], v[10:11], 2, v[6:7]
	global_load_b32 v1, v[10:11], off
	s_wait_loadcnt 0x0
	v_fmac_f32_e32 v12, s24, v1
	global_store_b32 v[10:11], v12, off
.LBB1_35:
	s_cbranch_execz .LBB1_37
	s_branch .LBB1_41
.LBB1_36:
.LBB1_37:
	v_mul_f32_e32 v1, s6, v2
	s_and_b32 vcc_lo, exec_lo, s1
	s_mov_b32 s4, -1
	s_cbranch_vccz .LBB1_39
; %bb.38:
	s_wait_xcnt 0x0
	v_lshl_add_u64 v[10:11], v[4:5], 2, v[8:9]
	s_mov_b32 s4, 0
	global_store_b32 v[10:11], v1, off
.LBB1_39:
	s_and_not1_b32 vcc_lo, exec_lo, s4
	s_cbranch_vccnz .LBB1_41
; %bb.40:
	v_mul_u64_e32 v[4:5], s[2:3], v[4:5]
	s_delay_alu instid0(VALU_DEP_1)
	v_lshl_add_u64 v[4:5], v[4:5], 2, v[6:7]
	global_store_b32 v[4:5], v1, off
.LBB1_41:
	s_wait_xcnt 0x0
	s_or_b32 exec_lo, exec_lo, s0
	v_cmp_gt_i32_e32 vcc_lo, s11, v0
	s_and_b32 exec_lo, exec_lo, vcc_lo
	s_cbranch_execz .LBB1_48
; %bb.42:
	v_cndmask_b32_e64 v2, 0, 1, s1
	v_ashrrev_i32_e32 v1, 31, v0
	s_and_not1_b32 vcc_lo, exec_lo, s7
	s_delay_alu instid0(VALU_DEP_2)
	v_cmp_ne_u32_e64 s0, 1, v2
	s_cbranch_vccnz .LBB1_49
; %bb.43:
	s_and_b32 vcc_lo, exec_lo, s0
	s_mov_b32 s0, -1
	s_cbranch_vccnz .LBB1_45
; %bb.44:
	v_lshl_add_u64 v[4:5], v[0:1], 2, v[8:9]
	v_mul_f32_e32 v10, s6, v3
	s_mov_b32 s0, 0
	global_load_b32 v2, v[4:5], off
	s_wait_loadcnt 0x0
	v_fmac_f32_e32 v10, s24, v2
	global_store_b32 v[4:5], v10, off
.LBB1_45:
	s_and_not1_b32 vcc_lo, exec_lo, s0
	s_cbranch_vccnz .LBB1_47
; %bb.46:
	s_wait_xcnt 0x0
	v_mul_u64_e32 v[4:5], s[2:3], v[0:1]
	v_mul_f32_e32 v10, s6, v3
	s_delay_alu instid0(VALU_DEP_2)
	v_lshl_add_u64 v[4:5], v[4:5], 2, v[6:7]
	global_load_b32 v2, v[4:5], off
	s_wait_loadcnt 0x0
	v_fmac_f32_e32 v10, s24, v2
	global_store_b32 v[4:5], v10, off
.LBB1_47:
	s_cbranch_execz .LBB1_50
.LBB1_48:
	s_endpgm
.LBB1_49:
.LBB1_50:
	v_mul_f32_e32 v2, s6, v3
	s_and_not1_b32 vcc_lo, exec_lo, s1
	s_mov_b32 s0, -1
	s_cbranch_vccnz .LBB1_52
; %bb.51:
	s_wait_xcnt 0x0
	v_lshl_add_u64 v[4:5], v[0:1], 2, v[8:9]
	s_mov_b32 s0, 0
	global_store_b32 v[4:5], v2, off
.LBB1_52:
	s_and_not1_b32 vcc_lo, exec_lo, s0
	s_cbranch_vccnz .LBB1_48
; %bb.53:
	v_mul_u64_e32 v[0:1], s[2:3], v[0:1]
	s_delay_alu instid0(VALU_DEP_1)
	v_lshl_add_u64 v[0:1], v[0:1], 2, v[6:7]
	global_store_b32 v[0:1], v2, off
	s_endpgm
	.section	.rodata,"a",@progbits
	.p2align	6, 0x0
	.amdhsa_kernel _ZN9rocsparseL31bsrmm_large_blockdim_kernel_extILj4ELj16ELj2EiiffffEEvb20rocsparse_direction_T3_S2_llNS_24const_host_device_scalarIT7_EEPKT2_PKS2_PKT4_S2_PKT5_llS5_PT6_ll16rocsparse_order_21rocsparse_index_base_b
		.amdhsa_group_segment_fixed_size 576
		.amdhsa_private_segment_fixed_size 0
		.amdhsa_kernarg_size 140
		.amdhsa_user_sgpr_count 2
		.amdhsa_user_sgpr_dispatch_ptr 0
		.amdhsa_user_sgpr_queue_ptr 0
		.amdhsa_user_sgpr_kernarg_segment_ptr 1
		.amdhsa_user_sgpr_dispatch_id 0
		.amdhsa_user_sgpr_kernarg_preload_length 0
		.amdhsa_user_sgpr_kernarg_preload_offset 0
		.amdhsa_user_sgpr_private_segment_size 0
		.amdhsa_wavefront_size32 1
		.amdhsa_uses_dynamic_stack 0
		.amdhsa_enable_private_segment 0
		.amdhsa_system_sgpr_workgroup_id_x 1
		.amdhsa_system_sgpr_workgroup_id_y 1
		.amdhsa_system_sgpr_workgroup_id_z 0
		.amdhsa_system_sgpr_workgroup_info 0
		.amdhsa_system_vgpr_workitem_id 1
		.amdhsa_next_free_vgpr 26
		.amdhsa_next_free_sgpr 30
		.amdhsa_named_barrier_count 0
		.amdhsa_reserve_vcc 1
		.amdhsa_float_round_mode_32 0
		.amdhsa_float_round_mode_16_64 0
		.amdhsa_float_denorm_mode_32 3
		.amdhsa_float_denorm_mode_16_64 3
		.amdhsa_fp16_overflow 0
		.amdhsa_memory_ordered 1
		.amdhsa_forward_progress 1
		.amdhsa_inst_pref_size 13
		.amdhsa_round_robin_scheduling 0
		.amdhsa_exception_fp_ieee_invalid_op 0
		.amdhsa_exception_fp_denorm_src 0
		.amdhsa_exception_fp_ieee_div_zero 0
		.amdhsa_exception_fp_ieee_overflow 0
		.amdhsa_exception_fp_ieee_underflow 0
		.amdhsa_exception_fp_ieee_inexact 0
		.amdhsa_exception_int_div_zero 0
	.end_amdhsa_kernel
	.section	.text._ZN9rocsparseL31bsrmm_large_blockdim_kernel_extILj4ELj16ELj2EiiffffEEvb20rocsparse_direction_T3_S2_llNS_24const_host_device_scalarIT7_EEPKT2_PKS2_PKT4_S2_PKT5_llS5_PT6_ll16rocsparse_order_21rocsparse_index_base_b,"axG",@progbits,_ZN9rocsparseL31bsrmm_large_blockdim_kernel_extILj4ELj16ELj2EiiffffEEvb20rocsparse_direction_T3_S2_llNS_24const_host_device_scalarIT7_EEPKT2_PKS2_PKT4_S2_PKT5_llS5_PT6_ll16rocsparse_order_21rocsparse_index_base_b,comdat
.Lfunc_end1:
	.size	_ZN9rocsparseL31bsrmm_large_blockdim_kernel_extILj4ELj16ELj2EiiffffEEvb20rocsparse_direction_T3_S2_llNS_24const_host_device_scalarIT7_EEPKT2_PKS2_PKT4_S2_PKT5_llS5_PT6_ll16rocsparse_order_21rocsparse_index_base_b, .Lfunc_end1-_ZN9rocsparseL31bsrmm_large_blockdim_kernel_extILj4ELj16ELj2EiiffffEEvb20rocsparse_direction_T3_S2_llNS_24const_host_device_scalarIT7_EEPKT2_PKS2_PKT4_S2_PKT5_llS5_PT6_ll16rocsparse_order_21rocsparse_index_base_b
                                        ; -- End function
	.set _ZN9rocsparseL31bsrmm_large_blockdim_kernel_extILj4ELj16ELj2EiiffffEEvb20rocsparse_direction_T3_S2_llNS_24const_host_device_scalarIT7_EEPKT2_PKS2_PKT4_S2_PKT5_llS5_PT6_ll16rocsparse_order_21rocsparse_index_base_b.num_vgpr, 26
	.set _ZN9rocsparseL31bsrmm_large_blockdim_kernel_extILj4ELj16ELj2EiiffffEEvb20rocsparse_direction_T3_S2_llNS_24const_host_device_scalarIT7_EEPKT2_PKS2_PKT4_S2_PKT5_llS5_PT6_ll16rocsparse_order_21rocsparse_index_base_b.num_agpr, 0
	.set _ZN9rocsparseL31bsrmm_large_blockdim_kernel_extILj4ELj16ELj2EiiffffEEvb20rocsparse_direction_T3_S2_llNS_24const_host_device_scalarIT7_EEPKT2_PKS2_PKT4_S2_PKT5_llS5_PT6_ll16rocsparse_order_21rocsparse_index_base_b.numbered_sgpr, 30
	.set _ZN9rocsparseL31bsrmm_large_blockdim_kernel_extILj4ELj16ELj2EiiffffEEvb20rocsparse_direction_T3_S2_llNS_24const_host_device_scalarIT7_EEPKT2_PKS2_PKT4_S2_PKT5_llS5_PT6_ll16rocsparse_order_21rocsparse_index_base_b.num_named_barrier, 0
	.set _ZN9rocsparseL31bsrmm_large_blockdim_kernel_extILj4ELj16ELj2EiiffffEEvb20rocsparse_direction_T3_S2_llNS_24const_host_device_scalarIT7_EEPKT2_PKS2_PKT4_S2_PKT5_llS5_PT6_ll16rocsparse_order_21rocsparse_index_base_b.private_seg_size, 0
	.set _ZN9rocsparseL31bsrmm_large_blockdim_kernel_extILj4ELj16ELj2EiiffffEEvb20rocsparse_direction_T3_S2_llNS_24const_host_device_scalarIT7_EEPKT2_PKS2_PKT4_S2_PKT5_llS5_PT6_ll16rocsparse_order_21rocsparse_index_base_b.uses_vcc, 1
	.set _ZN9rocsparseL31bsrmm_large_blockdim_kernel_extILj4ELj16ELj2EiiffffEEvb20rocsparse_direction_T3_S2_llNS_24const_host_device_scalarIT7_EEPKT2_PKS2_PKT4_S2_PKT5_llS5_PT6_ll16rocsparse_order_21rocsparse_index_base_b.uses_flat_scratch, 0
	.set _ZN9rocsparseL31bsrmm_large_blockdim_kernel_extILj4ELj16ELj2EiiffffEEvb20rocsparse_direction_T3_S2_llNS_24const_host_device_scalarIT7_EEPKT2_PKS2_PKT4_S2_PKT5_llS5_PT6_ll16rocsparse_order_21rocsparse_index_base_b.has_dyn_sized_stack, 0
	.set _ZN9rocsparseL31bsrmm_large_blockdim_kernel_extILj4ELj16ELj2EiiffffEEvb20rocsparse_direction_T3_S2_llNS_24const_host_device_scalarIT7_EEPKT2_PKS2_PKT4_S2_PKT5_llS5_PT6_ll16rocsparse_order_21rocsparse_index_base_b.has_recursion, 0
	.set _ZN9rocsparseL31bsrmm_large_blockdim_kernel_extILj4ELj16ELj2EiiffffEEvb20rocsparse_direction_T3_S2_llNS_24const_host_device_scalarIT7_EEPKT2_PKS2_PKT4_S2_PKT5_llS5_PT6_ll16rocsparse_order_21rocsparse_index_base_b.has_indirect_call, 0
	.section	.AMDGPU.csdata,"",@progbits
; Kernel info:
; codeLenInByte = 1628
; TotalNumSgprs: 32
; NumVgprs: 26
; ScratchSize: 0
; MemoryBound: 0
; FloatMode: 240
; IeeeMode: 1
; LDSByteSize: 576 bytes/workgroup (compile time only)
; SGPRBlocks: 0
; VGPRBlocks: 1
; NumSGPRsForWavesPerEU: 32
; NumVGPRsForWavesPerEU: 26
; NamedBarCnt: 0
; Occupancy: 16
; WaveLimiterHint : 1
; COMPUTE_PGM_RSRC2:SCRATCH_EN: 0
; COMPUTE_PGM_RSRC2:USER_SGPR: 2
; COMPUTE_PGM_RSRC2:TRAP_HANDLER: 0
; COMPUTE_PGM_RSRC2:TGID_X_EN: 1
; COMPUTE_PGM_RSRC2:TGID_Y_EN: 1
; COMPUTE_PGM_RSRC2:TGID_Z_EN: 0
; COMPUTE_PGM_RSRC2:TIDIG_COMP_CNT: 1
	.section	.text._ZN9rocsparseL31bsrmm_large_blockdim_kernel_extILj16ELj16ELj2EiiffffEEvb20rocsparse_direction_T3_S2_llNS_24const_host_device_scalarIT7_EEPKT2_PKS2_PKT4_S2_PKT5_llS5_PT6_ll16rocsparse_order_21rocsparse_index_base_b,"axG",@progbits,_ZN9rocsparseL31bsrmm_large_blockdim_kernel_extILj16ELj16ELj2EiiffffEEvb20rocsparse_direction_T3_S2_llNS_24const_host_device_scalarIT7_EEPKT2_PKS2_PKT4_S2_PKT5_llS5_PT6_ll16rocsparse_order_21rocsparse_index_base_b,comdat
	.globl	_ZN9rocsparseL31bsrmm_large_blockdim_kernel_extILj16ELj16ELj2EiiffffEEvb20rocsparse_direction_T3_S2_llNS_24const_host_device_scalarIT7_EEPKT2_PKS2_PKT4_S2_PKT5_llS5_PT6_ll16rocsparse_order_21rocsparse_index_base_b ; -- Begin function _ZN9rocsparseL31bsrmm_large_blockdim_kernel_extILj16ELj16ELj2EiiffffEEvb20rocsparse_direction_T3_S2_llNS_24const_host_device_scalarIT7_EEPKT2_PKS2_PKT4_S2_PKT5_llS5_PT6_ll16rocsparse_order_21rocsparse_index_base_b
	.p2align	8
	.type	_ZN9rocsparseL31bsrmm_large_blockdim_kernel_extILj16ELj16ELj2EiiffffEEvb20rocsparse_direction_T3_S2_llNS_24const_host_device_scalarIT7_EEPKT2_PKS2_PKT4_S2_PKT5_llS5_PT6_ll16rocsparse_order_21rocsparse_index_base_b,@function
_ZN9rocsparseL31bsrmm_large_blockdim_kernel_extILj16ELj16ELj2EiiffffEEvb20rocsparse_direction_T3_S2_llNS_24const_host_device_scalarIT7_EEPKT2_PKS2_PKT4_S2_PKT5_llS5_PT6_ll16rocsparse_order_21rocsparse_index_base_b: ; @_ZN9rocsparseL31bsrmm_large_blockdim_kernel_extILj16ELj16ELj2EiiffffEEvb20rocsparse_direction_T3_S2_llNS_24const_host_device_scalarIT7_EEPKT2_PKS2_PKT4_S2_PKT5_llS5_PT6_ll16rocsparse_order_21rocsparse_index_base_b
; %bb.0:
	s_clause 0x2
	s_load_b96 s[20:22], s[0:1], 0x80
	s_load_b64 s[6:7], s[0:1], 0x20
	s_load_b64 s[24:25], s[0:1], 0x60
	s_wait_kmcnt 0x0
	s_bitcmp1_b32 s22, 0
	s_cselect_b32 s2, -1, 0
	s_delay_alu instid0(SALU_CYCLE_1)
	s_and_b32 vcc_lo, exec_lo, s2
	s_xor_b32 s2, s2, -1
	s_cbranch_vccnz .LBB2_2
; %bb.1:
	s_load_b32 s6, s[6:7], 0x0
.LBB2_2:
	s_and_not1_b32 vcc_lo, exec_lo, s2
	s_cbranch_vccnz .LBB2_4
; %bb.3:
	s_load_b32 s24, s[24:25], 0x0
.LBB2_4:
	s_wait_kmcnt 0x0
	s_cmp_eq_f32 s6, 0
	s_mov_b32 s26, 0
	s_cselect_b32 s2, -1, 0
	s_cmp_eq_f32 s24, 1.0
	s_cselect_b32 s3, -1, 0
	s_delay_alu instid0(SALU_CYCLE_1) | instskip(NEXT) | instid1(SALU_CYCLE_1)
	s_and_b32 s2, s2, s3
	s_and_b32 vcc_lo, exec_lo, s2
	s_cbranch_vccnz .LBB2_48
; %bb.5:
	s_clause 0x1
	s_load_b128 s[8:11], s[0:1], 0x0
	s_load_b64 s[2:3], s[0:1], 0x28
	s_bfe_u32 s4, ttmp6, 0x4000c
	s_and_b32 s5, ttmp6, 15
	s_add_co_i32 s4, s4, 1
	s_delay_alu instid0(SALU_CYCLE_1)
	s_mul_i32 s7, ttmp9, s4
	s_getreg_b32 s4, hwreg(HW_REG_IB_STS2, 6, 4)
	s_add_co_i32 s5, s5, s7
	s_cmp_eq_u32 s4, 0
	s_cselect_b32 s22, ttmp9, s5
	s_wait_kmcnt 0x0
	s_cmp_lt_i32 s22, s10
	s_cselect_b32 s7, -1, 0
	s_cmp_ge_i32 s22, s10
	s_cbranch_scc1 .LBB2_7
; %bb.6:
	s_ashr_i32 s23, s22, 31
	s_delay_alu instid0(SALU_CYCLE_1) | instskip(NEXT) | instid1(SALU_CYCLE_1)
	s_lshl_b64 s[12:13], s[22:23], 2
	s_add_nc_u64 s[12:13], s[2:3], s[12:13]
	s_load_b32 s5, s[12:13], 0x0
	s_wait_kmcnt 0x0
	s_sub_co_i32 s26, s5, s21
.LBB2_7:
	s_and_not1_b32 vcc_lo, exec_lo, s7
	s_mov_b32 s23, 0
	s_cbranch_vccnz .LBB2_9
; %bb.8:
	s_ashr_i32 s23, s22, 31
	s_delay_alu instid0(SALU_CYCLE_1) | instskip(NEXT) | instid1(SALU_CYCLE_1)
	s_lshl_b64 s[12:13], s[22:23], 2
	s_add_nc_u64 s[2:3], s[2:3], s[12:13]
	s_load_b32 s2, s[2:3], 0x4
	s_wait_kmcnt 0x0
	s_sub_co_i32 s23, s2, s21
.LBB2_9:
	s_bfe_u32 s2, ttmp6, 0x40010
	s_bfe_u32 s3, ttmp6, 0x40004
	s_add_co_i32 s2, s2, 1
	s_load_b32 s10, s[0:1], 0x40
	s_mul_i32 s2, ttmp7, s2
	v_bfe_u32 v2, v0, 10, 10
	s_add_co_i32 s3, s3, s2
	s_cmp_eq_u32 s4, 0
	v_and_b32_e32 v14, 0x3ff, v0
	s_cselect_b32 s2, ttmp7, s3
	s_cmp_ge_i32 s26, s23
	v_lshl_add_u32 v4, s2, 5, v2
	s_delay_alu instid0(VALU_DEP_1) | instskip(SKIP_1) | instid1(VALU_DEP_2)
	v_add_nc_u32_e32 v0, 16, v4
	v_cmp_gt_i32_e64 s2, s11, v4
	v_cmp_gt_i32_e64 s3, s11, v0
	s_wait_kmcnt 0x0
	v_cmp_gt_i32_e32 vcc_lo, s10, v14
	s_cbranch_scc1 .LBB2_27
; %bb.10:
	s_clause 0x1
	s_load_b128 s[12:15], s[0:1], 0x48
	s_load_b128 s[16:19], s[0:1], 0x30
	v_dual_ashrrev_i32 v5, 31, v4 :: v_dual_lshlrev_b32 v15, 6, v2
	v_dual_ashrrev_i32 v1, 31, v0 :: v_dual_lshlrev_b32 v12, 6, v14
	v_cmp_gt_i32_e64 s4, s10, v2
	v_mad_u32 v3, s10, v2, v14
	v_mad_u32 v10, s10, v14, v2
	v_lshl_add_u32 v11, v2, 2, 0x800
	v_lshlrev_b32_e32 v13, 2, v14
	s_and_b32 s25, vcc_lo, s4
	s_bitcmp1_b32 s8, 0
	v_add_nc_u32_e32 v17, 0x800, v12
	s_cselect_b32 s4, -1, 0
	s_cmp_eq_u32 s9, 0
	v_add_nc_u32_e32 v20, v11, v12
	s_cselect_b32 s5, -1, 0
	v_add_nc_u32_e32 v18, 0x400, v15
	v_dual_cndmask_b32 v16, v3, v10, s5 :: v_dual_add_nc_u32 v19, v13, v15
	s_wait_kmcnt 0x0
	v_mul_u64_e32 v[6:7], s[14:15], v[4:5]
	v_mul_u64_e32 v[8:9], s[14:15], v[0:1]
	v_mov_b64_e32 v[2:3], 0
	s_mul_i32 s5, s10, s10
	s_branch .LBB2_13
.LBB2_11:                               ;   in Loop: Header=BB2_13 Depth=1
	s_or_b32 exec_lo, exec_lo, s9
.LBB2_12:                               ;   in Loop: Header=BB2_13 Depth=1
	s_delay_alu instid0(SALU_CYCLE_1) | instskip(SKIP_1) | instid1(SALU_CYCLE_1)
	s_or_b32 exec_lo, exec_lo, s8
	s_add_co_i32 s26, s26, 1
	s_cmp_ge_i32 s26, s23
	s_barrier_signal -1
	s_barrier_wait -1
	s_cbranch_scc1 .LBB2_28
.LBB2_13:                               ; =>This Loop Header: Depth=1
                                        ;     Child Loop BB2_23 Depth 2
                                        ;     Child Loop BB2_26 Depth 2
	s_and_saveexec_b32 s8, vcc_lo
	s_cbranch_execz .LBB2_18
; %bb.14:                               ;   in Loop: Header=BB2_13 Depth=1
	s_ashr_i32 s27, s26, 31
	s_delay_alu instid0(SALU_CYCLE_1) | instskip(NEXT) | instid1(SALU_CYCLE_1)
	s_lshl_b64 s[28:29], s[26:27], 2
	s_add_nc_u64 s[28:29], s[16:17], s[28:29]
	s_load_b32 s9, s[28:29], 0x0
	s_wait_kmcnt 0x0
	s_sub_co_i32 s9, s9, s21
	s_delay_alu instid0(SALU_CYCLE_1) | instskip(NEXT) | instid1(VALU_DEP_1)
	v_mad_u32 v12, s9, s10, v14
	v_ashrrev_i32_e32 v13, 31, v12
	s_delay_alu instid0(VALU_DEP_1) | instskip(SKIP_1) | instid1(VALU_DEP_2)
	v_mul_u64_e32 v[10:11], s[14:15], v[12:13]
	v_lshl_add_u64 v[12:13], v[12:13], 2, s[12:13]
	v_lshl_add_u64 v[10:11], v[10:11], 2, s[12:13]
	s_and_saveexec_b32 s9, s2
	s_cbranch_execz .LBB2_16
; %bb.15:                               ;   in Loop: Header=BB2_13 Depth=1
	s_delay_alu instid0(VALU_DEP_1) | instskip(SKIP_1) | instid1(VALU_DEP_1)
	v_lshl_add_u64 v[22:23], v[4:5], 2, v[10:11]
	v_lshl_add_u64 v[24:25], v[6:7], 2, v[12:13]
	v_dual_cndmask_b32 v23, v23, v25, s4 :: v_dual_cndmask_b32 v22, v22, v24, s4
	global_load_b32 v21, v[22:23], off
	s_wait_loadcnt 0x0
	ds_store_b32 v19, v21
.LBB2_16:                               ;   in Loop: Header=BB2_13 Depth=1
	s_or_b32 exec_lo, exec_lo, s9
	s_delay_alu instid0(SALU_CYCLE_1)
	s_and_b32 exec_lo, exec_lo, s3
	s_cbranch_execz .LBB2_18
; %bb.17:                               ;   in Loop: Header=BB2_13 Depth=1
	v_lshl_add_u64 v[12:13], v[8:9], 2, v[12:13]
	v_lshl_add_u64 v[10:11], v[0:1], 2, v[10:11]
	s_delay_alu instid0(VALU_DEP_1)
	v_dual_cndmask_b32 v11, v11, v13, s4 :: v_dual_cndmask_b32 v10, v10, v12, s4
	global_load_b32 v10, v[10:11], off
	s_wait_loadcnt 0x0
	ds_store_b32 v19, v10 offset:1024
.LBB2_18:                               ;   in Loop: Header=BB2_13 Depth=1
	s_or_b32 exec_lo, exec_lo, s8
	s_and_saveexec_b32 s8, s25
	s_cbranch_execz .LBB2_20
; %bb.19:                               ;   in Loop: Header=BB2_13 Depth=1
	v_mad_u32 v10, s5, s26, v16
	global_load_b32 v10, v10, s[18:19] scale_offset
	s_wait_loadcnt 0x0
	ds_store_b32 v20, v10
.LBB2_20:                               ;   in Loop: Header=BB2_13 Depth=1
	s_or_b32 exec_lo, exec_lo, s8
	s_wait_dscnt 0x0
	s_barrier_signal -1
	s_barrier_wait -1
	s_and_saveexec_b32 s8, vcc_lo
	s_cbranch_execz .LBB2_12
; %bb.21:                               ;   in Loop: Header=BB2_13 Depth=1
	s_and_saveexec_b32 s9, s2
	s_cbranch_execz .LBB2_24
; %bb.22:                               ;   in Loop: Header=BB2_13 Depth=1
	v_dual_mov_b32 v10, v17 :: v_dual_mov_b32 v11, v15
	s_mov_b32 s27, s10
.LBB2_23:                               ;   Parent Loop BB2_13 Depth=1
                                        ; =>  This Inner Loop Header: Depth=2
	ds_load_b32 v12, v10
	ds_load_b32 v13, v11
	v_dual_add_nc_u32 v11, 4, v11 :: v_dual_add_nc_u32 v10, 4, v10
	s_add_co_i32 s27, s27, -1
	s_delay_alu instid0(SALU_CYCLE_1)
	s_cmp_lg_u32 s27, 0
	s_wait_dscnt 0x0
	v_fma_f32 v2, v12, v13, v2
	s_cbranch_scc1 .LBB2_23
.LBB2_24:                               ;   in Loop: Header=BB2_13 Depth=1
	s_or_b32 exec_lo, exec_lo, s9
	s_and_saveexec_b32 s9, s3
	s_cbranch_execz .LBB2_11
; %bb.25:                               ;   in Loop: Header=BB2_13 Depth=1
	v_dual_mov_b32 v10, v17 :: v_dual_mov_b32 v11, v18
	s_mov_b32 s27, s10
.LBB2_26:                               ;   Parent Loop BB2_13 Depth=1
                                        ; =>  This Inner Loop Header: Depth=2
	ds_load_b32 v12, v10
	ds_load_b32 v13, v11
	v_dual_add_nc_u32 v11, 4, v11 :: v_dual_add_nc_u32 v10, 4, v10
	s_add_co_i32 s27, s27, -1
	s_delay_alu instid0(SALU_CYCLE_1)
	s_cmp_lg_u32 s27, 0
	s_wait_dscnt 0x0
	v_fma_f32 v3, v12, v13, v3
	s_cbranch_scc1 .LBB2_26
	s_branch .LBB2_11
.LBB2_27:
	v_mov_b64_e32 v[2:3], 0
.LBB2_28:
	s_load_b64 s[4:5], s[0:1], 0x68
	s_and_b32 s2, s7, vcc_lo
	s_delay_alu instid0(SALU_CYCLE_1)
	s_and_saveexec_b32 s3, s2
	s_cbranch_execz .LBB2_48
; %bb.29:
	s_load_b64 s[2:3], s[0:1], 0x70
	v_mad_u32 v6, s10, s22, v14
	s_cmp_neq_f32 s24, 0
	s_wait_xcnt 0x0
	s_mov_b32 s0, exec_lo
	s_cselect_b32 s7, -1, 0
	s_cmp_lg_u32 s20, 1
	s_cselect_b32 s1, -1, 0
	s_delay_alu instid0(VALU_DEP_1) | instskip(SKIP_1) | instid1(VALU_DEP_1)
	v_ashrrev_i32_e32 v7, 31, v6
	s_wait_kmcnt 0x0
	v_mul_u64_e32 v[8:9], s[2:3], v[6:7]
	v_lshl_add_u64 v[6:7], v[6:7], 2, s[4:5]
	s_delay_alu instid0(VALU_DEP_2)
	v_lshl_add_u64 v[8:9], v[8:9], 2, s[4:5]
	v_cmpx_gt_i32_e64 s11, v4
	s_cbranch_execz .LBB2_41
; %bb.30:
	v_ashrrev_i32_e32 v5, 31, v4
	s_and_b32 vcc_lo, exec_lo, s7
	s_cbranch_vccz .LBB2_36
; %bb.31:
	s_and_b32 vcc_lo, exec_lo, s1
	s_mov_b32 s4, -1
	s_cbranch_vccz .LBB2_33
; %bb.32:
	v_lshl_add_u64 v[10:11], v[4:5], 2, v[8:9]
	v_mul_f32_e32 v12, s6, v2
	s_mov_b32 s4, 0
	global_load_b32 v1, v[10:11], off
	s_wait_loadcnt 0x0
	v_fmac_f32_e32 v12, s24, v1
	global_store_b32 v[10:11], v12, off
.LBB2_33:
	s_and_not1_b32 vcc_lo, exec_lo, s4
	s_cbranch_vccnz .LBB2_35
; %bb.34:
	s_wait_xcnt 0x0
	v_mul_u64_e32 v[10:11], s[2:3], v[4:5]
	v_mul_f32_e32 v12, s6, v2
	s_delay_alu instid0(VALU_DEP_2)
	v_lshl_add_u64 v[10:11], v[10:11], 2, v[6:7]
	global_load_b32 v1, v[10:11], off
	s_wait_loadcnt 0x0
	v_fmac_f32_e32 v12, s24, v1
	global_store_b32 v[10:11], v12, off
.LBB2_35:
	s_cbranch_execz .LBB2_37
	s_branch .LBB2_41
.LBB2_36:
.LBB2_37:
	v_mul_f32_e32 v1, s6, v2
	s_and_b32 vcc_lo, exec_lo, s1
	s_mov_b32 s4, -1
	s_cbranch_vccz .LBB2_39
; %bb.38:
	s_wait_xcnt 0x0
	v_lshl_add_u64 v[10:11], v[4:5], 2, v[8:9]
	s_mov_b32 s4, 0
	global_store_b32 v[10:11], v1, off
.LBB2_39:
	s_and_not1_b32 vcc_lo, exec_lo, s4
	s_cbranch_vccnz .LBB2_41
; %bb.40:
	v_mul_u64_e32 v[4:5], s[2:3], v[4:5]
	s_delay_alu instid0(VALU_DEP_1)
	v_lshl_add_u64 v[4:5], v[4:5], 2, v[6:7]
	global_store_b32 v[4:5], v1, off
.LBB2_41:
	s_wait_xcnt 0x0
	s_or_b32 exec_lo, exec_lo, s0
	v_cmp_gt_i32_e32 vcc_lo, s11, v0
	s_and_b32 exec_lo, exec_lo, vcc_lo
	s_cbranch_execz .LBB2_48
; %bb.42:
	v_cndmask_b32_e64 v2, 0, 1, s1
	v_ashrrev_i32_e32 v1, 31, v0
	s_and_not1_b32 vcc_lo, exec_lo, s7
	s_delay_alu instid0(VALU_DEP_2)
	v_cmp_ne_u32_e64 s0, 1, v2
	s_cbranch_vccnz .LBB2_49
; %bb.43:
	s_and_b32 vcc_lo, exec_lo, s0
	s_mov_b32 s0, -1
	s_cbranch_vccnz .LBB2_45
; %bb.44:
	v_lshl_add_u64 v[4:5], v[0:1], 2, v[8:9]
	v_mul_f32_e32 v10, s6, v3
	s_mov_b32 s0, 0
	global_load_b32 v2, v[4:5], off
	s_wait_loadcnt 0x0
	v_fmac_f32_e32 v10, s24, v2
	global_store_b32 v[4:5], v10, off
.LBB2_45:
	s_and_not1_b32 vcc_lo, exec_lo, s0
	s_cbranch_vccnz .LBB2_47
; %bb.46:
	s_wait_xcnt 0x0
	v_mul_u64_e32 v[4:5], s[2:3], v[0:1]
	v_mul_f32_e32 v10, s6, v3
	s_delay_alu instid0(VALU_DEP_2)
	v_lshl_add_u64 v[4:5], v[4:5], 2, v[6:7]
	global_load_b32 v2, v[4:5], off
	s_wait_loadcnt 0x0
	v_fmac_f32_e32 v10, s24, v2
	global_store_b32 v[4:5], v10, off
.LBB2_47:
	s_cbranch_execz .LBB2_50
.LBB2_48:
	s_endpgm
.LBB2_49:
.LBB2_50:
	v_mul_f32_e32 v2, s6, v3
	s_and_not1_b32 vcc_lo, exec_lo, s1
	s_mov_b32 s0, -1
	s_cbranch_vccnz .LBB2_52
; %bb.51:
	s_wait_xcnt 0x0
	v_lshl_add_u64 v[4:5], v[0:1], 2, v[8:9]
	s_mov_b32 s0, 0
	global_store_b32 v[4:5], v2, off
.LBB2_52:
	s_and_not1_b32 vcc_lo, exec_lo, s0
	s_cbranch_vccnz .LBB2_48
; %bb.53:
	v_mul_u64_e32 v[0:1], s[2:3], v[0:1]
	s_delay_alu instid0(VALU_DEP_1)
	v_lshl_add_u64 v[0:1], v[0:1], 2, v[6:7]
	global_store_b32 v[0:1], v2, off
	s_endpgm
	.section	.rodata,"a",@progbits
	.p2align	6, 0x0
	.amdhsa_kernel _ZN9rocsparseL31bsrmm_large_blockdim_kernel_extILj16ELj16ELj2EiiffffEEvb20rocsparse_direction_T3_S2_llNS_24const_host_device_scalarIT7_EEPKT2_PKS2_PKT4_S2_PKT5_llS5_PT6_ll16rocsparse_order_21rocsparse_index_base_b
		.amdhsa_group_segment_fixed_size 3072
		.amdhsa_private_segment_fixed_size 0
		.amdhsa_kernarg_size 140
		.amdhsa_user_sgpr_count 2
		.amdhsa_user_sgpr_dispatch_ptr 0
		.amdhsa_user_sgpr_queue_ptr 0
		.amdhsa_user_sgpr_kernarg_segment_ptr 1
		.amdhsa_user_sgpr_dispatch_id 0
		.amdhsa_user_sgpr_kernarg_preload_length 0
		.amdhsa_user_sgpr_kernarg_preload_offset 0
		.amdhsa_user_sgpr_private_segment_size 0
		.amdhsa_wavefront_size32 1
		.amdhsa_uses_dynamic_stack 0
		.amdhsa_enable_private_segment 0
		.amdhsa_system_sgpr_workgroup_id_x 1
		.amdhsa_system_sgpr_workgroup_id_y 1
		.amdhsa_system_sgpr_workgroup_id_z 0
		.amdhsa_system_sgpr_workgroup_info 0
		.amdhsa_system_vgpr_workitem_id 1
		.amdhsa_next_free_vgpr 26
		.amdhsa_next_free_sgpr 30
		.amdhsa_named_barrier_count 0
		.amdhsa_reserve_vcc 1
		.amdhsa_float_round_mode_32 0
		.amdhsa_float_round_mode_16_64 0
		.amdhsa_float_denorm_mode_32 3
		.amdhsa_float_denorm_mode_16_64 3
		.amdhsa_fp16_overflow 0
		.amdhsa_memory_ordered 1
		.amdhsa_forward_progress 1
		.amdhsa_inst_pref_size 13
		.amdhsa_round_robin_scheduling 0
		.amdhsa_exception_fp_ieee_invalid_op 0
		.amdhsa_exception_fp_denorm_src 0
		.amdhsa_exception_fp_ieee_div_zero 0
		.amdhsa_exception_fp_ieee_overflow 0
		.amdhsa_exception_fp_ieee_underflow 0
		.amdhsa_exception_fp_ieee_inexact 0
		.amdhsa_exception_int_div_zero 0
	.end_amdhsa_kernel
	.section	.text._ZN9rocsparseL31bsrmm_large_blockdim_kernel_extILj16ELj16ELj2EiiffffEEvb20rocsparse_direction_T3_S2_llNS_24const_host_device_scalarIT7_EEPKT2_PKS2_PKT4_S2_PKT5_llS5_PT6_ll16rocsparse_order_21rocsparse_index_base_b,"axG",@progbits,_ZN9rocsparseL31bsrmm_large_blockdim_kernel_extILj16ELj16ELj2EiiffffEEvb20rocsparse_direction_T3_S2_llNS_24const_host_device_scalarIT7_EEPKT2_PKS2_PKT4_S2_PKT5_llS5_PT6_ll16rocsparse_order_21rocsparse_index_base_b,comdat
.Lfunc_end2:
	.size	_ZN9rocsparseL31bsrmm_large_blockdim_kernel_extILj16ELj16ELj2EiiffffEEvb20rocsparse_direction_T3_S2_llNS_24const_host_device_scalarIT7_EEPKT2_PKS2_PKT4_S2_PKT5_llS5_PT6_ll16rocsparse_order_21rocsparse_index_base_b, .Lfunc_end2-_ZN9rocsparseL31bsrmm_large_blockdim_kernel_extILj16ELj16ELj2EiiffffEEvb20rocsparse_direction_T3_S2_llNS_24const_host_device_scalarIT7_EEPKT2_PKS2_PKT4_S2_PKT5_llS5_PT6_ll16rocsparse_order_21rocsparse_index_base_b
                                        ; -- End function
	.set _ZN9rocsparseL31bsrmm_large_blockdim_kernel_extILj16ELj16ELj2EiiffffEEvb20rocsparse_direction_T3_S2_llNS_24const_host_device_scalarIT7_EEPKT2_PKS2_PKT4_S2_PKT5_llS5_PT6_ll16rocsparse_order_21rocsparse_index_base_b.num_vgpr, 26
	.set _ZN9rocsparseL31bsrmm_large_blockdim_kernel_extILj16ELj16ELj2EiiffffEEvb20rocsparse_direction_T3_S2_llNS_24const_host_device_scalarIT7_EEPKT2_PKS2_PKT4_S2_PKT5_llS5_PT6_ll16rocsparse_order_21rocsparse_index_base_b.num_agpr, 0
	.set _ZN9rocsparseL31bsrmm_large_blockdim_kernel_extILj16ELj16ELj2EiiffffEEvb20rocsparse_direction_T3_S2_llNS_24const_host_device_scalarIT7_EEPKT2_PKS2_PKT4_S2_PKT5_llS5_PT6_ll16rocsparse_order_21rocsparse_index_base_b.numbered_sgpr, 30
	.set _ZN9rocsparseL31bsrmm_large_blockdim_kernel_extILj16ELj16ELj2EiiffffEEvb20rocsparse_direction_T3_S2_llNS_24const_host_device_scalarIT7_EEPKT2_PKS2_PKT4_S2_PKT5_llS5_PT6_ll16rocsparse_order_21rocsparse_index_base_b.num_named_barrier, 0
	.set _ZN9rocsparseL31bsrmm_large_blockdim_kernel_extILj16ELj16ELj2EiiffffEEvb20rocsparse_direction_T3_S2_llNS_24const_host_device_scalarIT7_EEPKT2_PKS2_PKT4_S2_PKT5_llS5_PT6_ll16rocsparse_order_21rocsparse_index_base_b.private_seg_size, 0
	.set _ZN9rocsparseL31bsrmm_large_blockdim_kernel_extILj16ELj16ELj2EiiffffEEvb20rocsparse_direction_T3_S2_llNS_24const_host_device_scalarIT7_EEPKT2_PKS2_PKT4_S2_PKT5_llS5_PT6_ll16rocsparse_order_21rocsparse_index_base_b.uses_vcc, 1
	.set _ZN9rocsparseL31bsrmm_large_blockdim_kernel_extILj16ELj16ELj2EiiffffEEvb20rocsparse_direction_T3_S2_llNS_24const_host_device_scalarIT7_EEPKT2_PKS2_PKT4_S2_PKT5_llS5_PT6_ll16rocsparse_order_21rocsparse_index_base_b.uses_flat_scratch, 0
	.set _ZN9rocsparseL31bsrmm_large_blockdim_kernel_extILj16ELj16ELj2EiiffffEEvb20rocsparse_direction_T3_S2_llNS_24const_host_device_scalarIT7_EEPKT2_PKS2_PKT4_S2_PKT5_llS5_PT6_ll16rocsparse_order_21rocsparse_index_base_b.has_dyn_sized_stack, 0
	.set _ZN9rocsparseL31bsrmm_large_blockdim_kernel_extILj16ELj16ELj2EiiffffEEvb20rocsparse_direction_T3_S2_llNS_24const_host_device_scalarIT7_EEPKT2_PKS2_PKT4_S2_PKT5_llS5_PT6_ll16rocsparse_order_21rocsparse_index_base_b.has_recursion, 0
	.set _ZN9rocsparseL31bsrmm_large_blockdim_kernel_extILj16ELj16ELj2EiiffffEEvb20rocsparse_direction_T3_S2_llNS_24const_host_device_scalarIT7_EEPKT2_PKS2_PKT4_S2_PKT5_llS5_PT6_ll16rocsparse_order_21rocsparse_index_base_b.has_indirect_call, 0
	.section	.AMDGPU.csdata,"",@progbits
; Kernel info:
; codeLenInByte = 1628
; TotalNumSgprs: 32
; NumVgprs: 26
; ScratchSize: 0
; MemoryBound: 0
; FloatMode: 240
; IeeeMode: 1
; LDSByteSize: 3072 bytes/workgroup (compile time only)
; SGPRBlocks: 0
; VGPRBlocks: 1
; NumSGPRsForWavesPerEU: 32
; NumVGPRsForWavesPerEU: 26
; NamedBarCnt: 0
; Occupancy: 16
; WaveLimiterHint : 1
; COMPUTE_PGM_RSRC2:SCRATCH_EN: 0
; COMPUTE_PGM_RSRC2:USER_SGPR: 2
; COMPUTE_PGM_RSRC2:TRAP_HANDLER: 0
; COMPUTE_PGM_RSRC2:TGID_X_EN: 1
; COMPUTE_PGM_RSRC2:TGID_Y_EN: 1
; COMPUTE_PGM_RSRC2:TGID_Z_EN: 0
; COMPUTE_PGM_RSRC2:TIDIG_COMP_CNT: 1
	.section	.text._ZN9rocsparseL31bsrmm_large_blockdim_kernel_extILj32ELj32ELj2EiiffffEEvb20rocsparse_direction_T3_S2_llNS_24const_host_device_scalarIT7_EEPKT2_PKS2_PKT4_S2_PKT5_llS5_PT6_ll16rocsparse_order_21rocsparse_index_base_b,"axG",@progbits,_ZN9rocsparseL31bsrmm_large_blockdim_kernel_extILj32ELj32ELj2EiiffffEEvb20rocsparse_direction_T3_S2_llNS_24const_host_device_scalarIT7_EEPKT2_PKS2_PKT4_S2_PKT5_llS5_PT6_ll16rocsparse_order_21rocsparse_index_base_b,comdat
	.globl	_ZN9rocsparseL31bsrmm_large_blockdim_kernel_extILj32ELj32ELj2EiiffffEEvb20rocsparse_direction_T3_S2_llNS_24const_host_device_scalarIT7_EEPKT2_PKS2_PKT4_S2_PKT5_llS5_PT6_ll16rocsparse_order_21rocsparse_index_base_b ; -- Begin function _ZN9rocsparseL31bsrmm_large_blockdim_kernel_extILj32ELj32ELj2EiiffffEEvb20rocsparse_direction_T3_S2_llNS_24const_host_device_scalarIT7_EEPKT2_PKS2_PKT4_S2_PKT5_llS5_PT6_ll16rocsparse_order_21rocsparse_index_base_b
	.p2align	8
	.type	_ZN9rocsparseL31bsrmm_large_blockdim_kernel_extILj32ELj32ELj2EiiffffEEvb20rocsparse_direction_T3_S2_llNS_24const_host_device_scalarIT7_EEPKT2_PKS2_PKT4_S2_PKT5_llS5_PT6_ll16rocsparse_order_21rocsparse_index_base_b,@function
_ZN9rocsparseL31bsrmm_large_blockdim_kernel_extILj32ELj32ELj2EiiffffEEvb20rocsparse_direction_T3_S2_llNS_24const_host_device_scalarIT7_EEPKT2_PKS2_PKT4_S2_PKT5_llS5_PT6_ll16rocsparse_order_21rocsparse_index_base_b: ; @_ZN9rocsparseL31bsrmm_large_blockdim_kernel_extILj32ELj32ELj2EiiffffEEvb20rocsparse_direction_T3_S2_llNS_24const_host_device_scalarIT7_EEPKT2_PKS2_PKT4_S2_PKT5_llS5_PT6_ll16rocsparse_order_21rocsparse_index_base_b
; %bb.0:
	s_clause 0x2
	s_load_b96 s[20:22], s[0:1], 0x80
	s_load_b64 s[6:7], s[0:1], 0x20
	s_load_b64 s[24:25], s[0:1], 0x60
	s_wait_kmcnt 0x0
	s_bitcmp1_b32 s22, 0
	s_cselect_b32 s2, -1, 0
	s_delay_alu instid0(SALU_CYCLE_1)
	s_and_b32 vcc_lo, exec_lo, s2
	s_xor_b32 s2, s2, -1
	s_cbranch_vccnz .LBB3_2
; %bb.1:
	s_load_b32 s6, s[6:7], 0x0
.LBB3_2:
	s_and_not1_b32 vcc_lo, exec_lo, s2
	s_cbranch_vccnz .LBB3_4
; %bb.3:
	s_load_b32 s24, s[24:25], 0x0
.LBB3_4:
	s_wait_kmcnt 0x0
	s_cmp_eq_f32 s6, 0
	s_mov_b32 s26, 0
	s_cselect_b32 s2, -1, 0
	s_cmp_eq_f32 s24, 1.0
	s_cselect_b32 s3, -1, 0
	s_delay_alu instid0(SALU_CYCLE_1) | instskip(NEXT) | instid1(SALU_CYCLE_1)
	s_and_b32 s2, s2, s3
	s_and_b32 vcc_lo, exec_lo, s2
	s_cbranch_vccnz .LBB3_48
; %bb.5:
	s_clause 0x1
	s_load_b128 s[8:11], s[0:1], 0x0
	s_load_b64 s[2:3], s[0:1], 0x28
	s_bfe_u32 s4, ttmp6, 0x4000c
	s_and_b32 s5, ttmp6, 15
	s_add_co_i32 s4, s4, 1
	s_delay_alu instid0(SALU_CYCLE_1)
	s_mul_i32 s7, ttmp9, s4
	s_getreg_b32 s4, hwreg(HW_REG_IB_STS2, 6, 4)
	s_add_co_i32 s5, s5, s7
	s_cmp_eq_u32 s4, 0
	s_cselect_b32 s22, ttmp9, s5
	s_wait_kmcnt 0x0
	s_cmp_lt_i32 s22, s10
	s_cselect_b32 s7, -1, 0
	s_cmp_ge_i32 s22, s10
	s_cbranch_scc1 .LBB3_7
; %bb.6:
	s_ashr_i32 s23, s22, 31
	s_delay_alu instid0(SALU_CYCLE_1) | instskip(NEXT) | instid1(SALU_CYCLE_1)
	s_lshl_b64 s[12:13], s[22:23], 2
	s_add_nc_u64 s[12:13], s[2:3], s[12:13]
	s_load_b32 s5, s[12:13], 0x0
	s_wait_kmcnt 0x0
	s_sub_co_i32 s26, s5, s21
.LBB3_7:
	s_and_not1_b32 vcc_lo, exec_lo, s7
	s_mov_b32 s23, 0
	s_cbranch_vccnz .LBB3_9
; %bb.8:
	s_ashr_i32 s23, s22, 31
	s_delay_alu instid0(SALU_CYCLE_1) | instskip(NEXT) | instid1(SALU_CYCLE_1)
	s_lshl_b64 s[12:13], s[22:23], 2
	s_add_nc_u64 s[2:3], s[2:3], s[12:13]
	s_load_b32 s2, s[2:3], 0x4
	s_wait_kmcnt 0x0
	s_sub_co_i32 s23, s2, s21
.LBB3_9:
	s_bfe_u32 s2, ttmp6, 0x40010
	s_bfe_u32 s3, ttmp6, 0x40004
	s_add_co_i32 s2, s2, 1
	s_load_b32 s10, s[0:1], 0x40
	s_mul_i32 s2, ttmp7, s2
	v_bfe_u32 v2, v0, 10, 10
	s_add_co_i32 s3, s3, s2
	s_cmp_eq_u32 s4, 0
	v_and_b32_e32 v14, 0x3ff, v0
	s_cselect_b32 s2, ttmp7, s3
	s_cmp_ge_i32 s26, s23
	v_lshl_add_u32 v4, s2, 6, v2
	s_delay_alu instid0(VALU_DEP_1) | instskip(SKIP_1) | instid1(VALU_DEP_2)
	v_add_nc_u32_e32 v0, 32, v4
	v_cmp_gt_i32_e64 s2, s11, v4
	v_cmp_gt_i32_e64 s3, s11, v0
	s_wait_kmcnt 0x0
	v_cmp_gt_i32_e32 vcc_lo, s10, v14
	s_cbranch_scc1 .LBB3_27
; %bb.10:
	s_clause 0x1
	s_load_b128 s[12:15], s[0:1], 0x48
	s_load_b128 s[16:19], s[0:1], 0x30
	v_dual_ashrrev_i32 v5, 31, v4 :: v_dual_lshlrev_b32 v15, 7, v2
	v_dual_ashrrev_i32 v1, 31, v0 :: v_dual_lshlrev_b32 v12, 7, v14
	v_cmp_gt_i32_e64 s4, s10, v2
	v_mad_u32 v3, s10, v2, v14
	v_mad_u32 v10, s10, v14, v2
	v_lshl_or_b32 v11, v2, 2, 0x2000
	v_lshlrev_b32_e32 v13, 2, v14
	s_and_b32 s25, vcc_lo, s4
	s_bitcmp1_b32 s8, 0
	v_add_nc_u32_e32 v17, 0x2000, v12
	s_cselect_b32 s4, -1, 0
	s_cmp_eq_u32 s9, 0
	v_add_nc_u32_e32 v20, v11, v12
	s_cselect_b32 s5, -1, 0
	v_add_nc_u32_e32 v18, 0x1000, v15
	v_dual_cndmask_b32 v16, v3, v10, s5 :: v_dual_add_nc_u32 v19, v13, v15
	s_wait_kmcnt 0x0
	v_mul_u64_e32 v[6:7], s[14:15], v[4:5]
	v_mul_u64_e32 v[8:9], s[14:15], v[0:1]
	v_mov_b64_e32 v[2:3], 0
	s_mul_i32 s5, s10, s10
	s_branch .LBB3_13
.LBB3_11:                               ;   in Loop: Header=BB3_13 Depth=1
	s_or_b32 exec_lo, exec_lo, s9
.LBB3_12:                               ;   in Loop: Header=BB3_13 Depth=1
	s_delay_alu instid0(SALU_CYCLE_1) | instskip(SKIP_1) | instid1(SALU_CYCLE_1)
	s_or_b32 exec_lo, exec_lo, s8
	s_add_co_i32 s26, s26, 1
	s_cmp_ge_i32 s26, s23
	s_barrier_signal -1
	s_barrier_wait -1
	s_cbranch_scc1 .LBB3_28
.LBB3_13:                               ; =>This Loop Header: Depth=1
                                        ;     Child Loop BB3_23 Depth 2
                                        ;     Child Loop BB3_26 Depth 2
	s_and_saveexec_b32 s8, vcc_lo
	s_cbranch_execz .LBB3_18
; %bb.14:                               ;   in Loop: Header=BB3_13 Depth=1
	s_ashr_i32 s27, s26, 31
	s_delay_alu instid0(SALU_CYCLE_1) | instskip(NEXT) | instid1(SALU_CYCLE_1)
	s_lshl_b64 s[28:29], s[26:27], 2
	s_add_nc_u64 s[28:29], s[16:17], s[28:29]
	s_load_b32 s9, s[28:29], 0x0
	s_wait_kmcnt 0x0
	s_sub_co_i32 s9, s9, s21
	s_delay_alu instid0(SALU_CYCLE_1) | instskip(NEXT) | instid1(VALU_DEP_1)
	v_mad_u32 v12, s9, s10, v14
	v_ashrrev_i32_e32 v13, 31, v12
	s_delay_alu instid0(VALU_DEP_1) | instskip(SKIP_1) | instid1(VALU_DEP_2)
	v_mul_u64_e32 v[10:11], s[14:15], v[12:13]
	v_lshl_add_u64 v[12:13], v[12:13], 2, s[12:13]
	v_lshl_add_u64 v[10:11], v[10:11], 2, s[12:13]
	s_and_saveexec_b32 s9, s2
	s_cbranch_execz .LBB3_16
; %bb.15:                               ;   in Loop: Header=BB3_13 Depth=1
	s_delay_alu instid0(VALU_DEP_1) | instskip(SKIP_1) | instid1(VALU_DEP_1)
	v_lshl_add_u64 v[22:23], v[4:5], 2, v[10:11]
	v_lshl_add_u64 v[24:25], v[6:7], 2, v[12:13]
	v_dual_cndmask_b32 v23, v23, v25, s4 :: v_dual_cndmask_b32 v22, v22, v24, s4
	global_load_b32 v21, v[22:23], off
	s_wait_loadcnt 0x0
	ds_store_b32 v19, v21
.LBB3_16:                               ;   in Loop: Header=BB3_13 Depth=1
	s_or_b32 exec_lo, exec_lo, s9
	s_delay_alu instid0(SALU_CYCLE_1)
	s_and_b32 exec_lo, exec_lo, s3
	s_cbranch_execz .LBB3_18
; %bb.17:                               ;   in Loop: Header=BB3_13 Depth=1
	v_lshl_add_u64 v[12:13], v[8:9], 2, v[12:13]
	v_lshl_add_u64 v[10:11], v[0:1], 2, v[10:11]
	s_delay_alu instid0(VALU_DEP_1)
	v_dual_cndmask_b32 v11, v11, v13, s4 :: v_dual_cndmask_b32 v10, v10, v12, s4
	global_load_b32 v10, v[10:11], off
	s_wait_loadcnt 0x0
	ds_store_b32 v19, v10 offset:4096
.LBB3_18:                               ;   in Loop: Header=BB3_13 Depth=1
	s_or_b32 exec_lo, exec_lo, s8
	s_and_saveexec_b32 s8, s25
	s_cbranch_execz .LBB3_20
; %bb.19:                               ;   in Loop: Header=BB3_13 Depth=1
	v_mad_u32 v10, s5, s26, v16
	global_load_b32 v10, v10, s[18:19] scale_offset
	s_wait_loadcnt 0x0
	ds_store_b32 v20, v10
.LBB3_20:                               ;   in Loop: Header=BB3_13 Depth=1
	s_or_b32 exec_lo, exec_lo, s8
	s_wait_dscnt 0x0
	s_barrier_signal -1
	s_barrier_wait -1
	s_and_saveexec_b32 s8, vcc_lo
	s_cbranch_execz .LBB3_12
; %bb.21:                               ;   in Loop: Header=BB3_13 Depth=1
	s_and_saveexec_b32 s9, s2
	s_cbranch_execz .LBB3_24
; %bb.22:                               ;   in Loop: Header=BB3_13 Depth=1
	v_dual_mov_b32 v10, v17 :: v_dual_mov_b32 v11, v15
	s_mov_b32 s27, s10
.LBB3_23:                               ;   Parent Loop BB3_13 Depth=1
                                        ; =>  This Inner Loop Header: Depth=2
	ds_load_b32 v12, v10
	ds_load_b32 v13, v11
	v_dual_add_nc_u32 v11, 4, v11 :: v_dual_add_nc_u32 v10, 4, v10
	s_add_co_i32 s27, s27, -1
	s_delay_alu instid0(SALU_CYCLE_1)
	s_cmp_lg_u32 s27, 0
	s_wait_dscnt 0x0
	v_fma_f32 v2, v12, v13, v2
	s_cbranch_scc1 .LBB3_23
.LBB3_24:                               ;   in Loop: Header=BB3_13 Depth=1
	s_or_b32 exec_lo, exec_lo, s9
	s_and_saveexec_b32 s9, s3
	s_cbranch_execz .LBB3_11
; %bb.25:                               ;   in Loop: Header=BB3_13 Depth=1
	v_dual_mov_b32 v10, v17 :: v_dual_mov_b32 v11, v18
	s_mov_b32 s27, s10
.LBB3_26:                               ;   Parent Loop BB3_13 Depth=1
                                        ; =>  This Inner Loop Header: Depth=2
	ds_load_b32 v12, v10
	ds_load_b32 v13, v11
	v_dual_add_nc_u32 v11, 4, v11 :: v_dual_add_nc_u32 v10, 4, v10
	s_add_co_i32 s27, s27, -1
	s_delay_alu instid0(SALU_CYCLE_1)
	s_cmp_lg_u32 s27, 0
	s_wait_dscnt 0x0
	v_fma_f32 v3, v12, v13, v3
	s_cbranch_scc1 .LBB3_26
	s_branch .LBB3_11
.LBB3_27:
	v_mov_b64_e32 v[2:3], 0
.LBB3_28:
	s_load_b64 s[4:5], s[0:1], 0x68
	s_and_b32 s2, s7, vcc_lo
	s_delay_alu instid0(SALU_CYCLE_1)
	s_and_saveexec_b32 s3, s2
	s_cbranch_execz .LBB3_48
; %bb.29:
	s_load_b64 s[2:3], s[0:1], 0x70
	v_mad_u32 v6, s10, s22, v14
	s_cmp_neq_f32 s24, 0
	s_wait_xcnt 0x0
	s_mov_b32 s0, exec_lo
	s_cselect_b32 s7, -1, 0
	s_cmp_lg_u32 s20, 1
	s_cselect_b32 s1, -1, 0
	s_delay_alu instid0(VALU_DEP_1) | instskip(SKIP_1) | instid1(VALU_DEP_1)
	v_ashrrev_i32_e32 v7, 31, v6
	s_wait_kmcnt 0x0
	v_mul_u64_e32 v[8:9], s[2:3], v[6:7]
	v_lshl_add_u64 v[6:7], v[6:7], 2, s[4:5]
	s_delay_alu instid0(VALU_DEP_2)
	v_lshl_add_u64 v[8:9], v[8:9], 2, s[4:5]
	v_cmpx_gt_i32_e64 s11, v4
	s_cbranch_execz .LBB3_41
; %bb.30:
	v_ashrrev_i32_e32 v5, 31, v4
	s_and_b32 vcc_lo, exec_lo, s7
	s_cbranch_vccz .LBB3_36
; %bb.31:
	s_and_b32 vcc_lo, exec_lo, s1
	s_mov_b32 s4, -1
	s_cbranch_vccz .LBB3_33
; %bb.32:
	v_lshl_add_u64 v[10:11], v[4:5], 2, v[8:9]
	v_mul_f32_e32 v12, s6, v2
	s_mov_b32 s4, 0
	global_load_b32 v1, v[10:11], off
	s_wait_loadcnt 0x0
	v_fmac_f32_e32 v12, s24, v1
	global_store_b32 v[10:11], v12, off
.LBB3_33:
	s_and_not1_b32 vcc_lo, exec_lo, s4
	s_cbranch_vccnz .LBB3_35
; %bb.34:
	s_wait_xcnt 0x0
	v_mul_u64_e32 v[10:11], s[2:3], v[4:5]
	v_mul_f32_e32 v12, s6, v2
	s_delay_alu instid0(VALU_DEP_2)
	v_lshl_add_u64 v[10:11], v[10:11], 2, v[6:7]
	global_load_b32 v1, v[10:11], off
	s_wait_loadcnt 0x0
	v_fmac_f32_e32 v12, s24, v1
	global_store_b32 v[10:11], v12, off
.LBB3_35:
	s_cbranch_execz .LBB3_37
	s_branch .LBB3_41
.LBB3_36:
.LBB3_37:
	v_mul_f32_e32 v1, s6, v2
	s_and_b32 vcc_lo, exec_lo, s1
	s_mov_b32 s4, -1
	s_cbranch_vccz .LBB3_39
; %bb.38:
	s_wait_xcnt 0x0
	v_lshl_add_u64 v[10:11], v[4:5], 2, v[8:9]
	s_mov_b32 s4, 0
	global_store_b32 v[10:11], v1, off
.LBB3_39:
	s_and_not1_b32 vcc_lo, exec_lo, s4
	s_cbranch_vccnz .LBB3_41
; %bb.40:
	v_mul_u64_e32 v[4:5], s[2:3], v[4:5]
	s_delay_alu instid0(VALU_DEP_1)
	v_lshl_add_u64 v[4:5], v[4:5], 2, v[6:7]
	global_store_b32 v[4:5], v1, off
.LBB3_41:
	s_wait_xcnt 0x0
	s_or_b32 exec_lo, exec_lo, s0
	v_cmp_gt_i32_e32 vcc_lo, s11, v0
	s_and_b32 exec_lo, exec_lo, vcc_lo
	s_cbranch_execz .LBB3_48
; %bb.42:
	v_cndmask_b32_e64 v2, 0, 1, s1
	v_ashrrev_i32_e32 v1, 31, v0
	s_and_not1_b32 vcc_lo, exec_lo, s7
	s_delay_alu instid0(VALU_DEP_2)
	v_cmp_ne_u32_e64 s0, 1, v2
	s_cbranch_vccnz .LBB3_49
; %bb.43:
	s_and_b32 vcc_lo, exec_lo, s0
	s_mov_b32 s0, -1
	s_cbranch_vccnz .LBB3_45
; %bb.44:
	v_lshl_add_u64 v[4:5], v[0:1], 2, v[8:9]
	v_mul_f32_e32 v10, s6, v3
	s_mov_b32 s0, 0
	global_load_b32 v2, v[4:5], off
	s_wait_loadcnt 0x0
	v_fmac_f32_e32 v10, s24, v2
	global_store_b32 v[4:5], v10, off
.LBB3_45:
	s_and_not1_b32 vcc_lo, exec_lo, s0
	s_cbranch_vccnz .LBB3_47
; %bb.46:
	s_wait_xcnt 0x0
	v_mul_u64_e32 v[4:5], s[2:3], v[0:1]
	v_mul_f32_e32 v10, s6, v3
	s_delay_alu instid0(VALU_DEP_2)
	v_lshl_add_u64 v[4:5], v[4:5], 2, v[6:7]
	global_load_b32 v2, v[4:5], off
	s_wait_loadcnt 0x0
	v_fmac_f32_e32 v10, s24, v2
	global_store_b32 v[4:5], v10, off
.LBB3_47:
	s_cbranch_execz .LBB3_50
.LBB3_48:
	s_endpgm
.LBB3_49:
.LBB3_50:
	v_mul_f32_e32 v2, s6, v3
	s_and_not1_b32 vcc_lo, exec_lo, s1
	s_mov_b32 s0, -1
	s_cbranch_vccnz .LBB3_52
; %bb.51:
	s_wait_xcnt 0x0
	v_lshl_add_u64 v[4:5], v[0:1], 2, v[8:9]
	s_mov_b32 s0, 0
	global_store_b32 v[4:5], v2, off
.LBB3_52:
	s_and_not1_b32 vcc_lo, exec_lo, s0
	s_cbranch_vccnz .LBB3_48
; %bb.53:
	v_mul_u64_e32 v[0:1], s[2:3], v[0:1]
	s_delay_alu instid0(VALU_DEP_1)
	v_lshl_add_u64 v[0:1], v[0:1], 2, v[6:7]
	global_store_b32 v[0:1], v2, off
	s_endpgm
	.section	.rodata,"a",@progbits
	.p2align	6, 0x0
	.amdhsa_kernel _ZN9rocsparseL31bsrmm_large_blockdim_kernel_extILj32ELj32ELj2EiiffffEEvb20rocsparse_direction_T3_S2_llNS_24const_host_device_scalarIT7_EEPKT2_PKS2_PKT4_S2_PKT5_llS5_PT6_ll16rocsparse_order_21rocsparse_index_base_b
		.amdhsa_group_segment_fixed_size 12288
		.amdhsa_private_segment_fixed_size 0
		.amdhsa_kernarg_size 140
		.amdhsa_user_sgpr_count 2
		.amdhsa_user_sgpr_dispatch_ptr 0
		.amdhsa_user_sgpr_queue_ptr 0
		.amdhsa_user_sgpr_kernarg_segment_ptr 1
		.amdhsa_user_sgpr_dispatch_id 0
		.amdhsa_user_sgpr_kernarg_preload_length 0
		.amdhsa_user_sgpr_kernarg_preload_offset 0
		.amdhsa_user_sgpr_private_segment_size 0
		.amdhsa_wavefront_size32 1
		.amdhsa_uses_dynamic_stack 0
		.amdhsa_enable_private_segment 0
		.amdhsa_system_sgpr_workgroup_id_x 1
		.amdhsa_system_sgpr_workgroup_id_y 1
		.amdhsa_system_sgpr_workgroup_id_z 0
		.amdhsa_system_sgpr_workgroup_info 0
		.amdhsa_system_vgpr_workitem_id 1
		.amdhsa_next_free_vgpr 26
		.amdhsa_next_free_sgpr 30
		.amdhsa_named_barrier_count 0
		.amdhsa_reserve_vcc 1
		.amdhsa_float_round_mode_32 0
		.amdhsa_float_round_mode_16_64 0
		.amdhsa_float_denorm_mode_32 3
		.amdhsa_float_denorm_mode_16_64 3
		.amdhsa_fp16_overflow 0
		.amdhsa_memory_ordered 1
		.amdhsa_forward_progress 1
		.amdhsa_inst_pref_size 13
		.amdhsa_round_robin_scheduling 0
		.amdhsa_exception_fp_ieee_invalid_op 0
		.amdhsa_exception_fp_denorm_src 0
		.amdhsa_exception_fp_ieee_div_zero 0
		.amdhsa_exception_fp_ieee_overflow 0
		.amdhsa_exception_fp_ieee_underflow 0
		.amdhsa_exception_fp_ieee_inexact 0
		.amdhsa_exception_int_div_zero 0
	.end_amdhsa_kernel
	.section	.text._ZN9rocsparseL31bsrmm_large_blockdim_kernel_extILj32ELj32ELj2EiiffffEEvb20rocsparse_direction_T3_S2_llNS_24const_host_device_scalarIT7_EEPKT2_PKS2_PKT4_S2_PKT5_llS5_PT6_ll16rocsparse_order_21rocsparse_index_base_b,"axG",@progbits,_ZN9rocsparseL31bsrmm_large_blockdim_kernel_extILj32ELj32ELj2EiiffffEEvb20rocsparse_direction_T3_S2_llNS_24const_host_device_scalarIT7_EEPKT2_PKS2_PKT4_S2_PKT5_llS5_PT6_ll16rocsparse_order_21rocsparse_index_base_b,comdat
.Lfunc_end3:
	.size	_ZN9rocsparseL31bsrmm_large_blockdim_kernel_extILj32ELj32ELj2EiiffffEEvb20rocsparse_direction_T3_S2_llNS_24const_host_device_scalarIT7_EEPKT2_PKS2_PKT4_S2_PKT5_llS5_PT6_ll16rocsparse_order_21rocsparse_index_base_b, .Lfunc_end3-_ZN9rocsparseL31bsrmm_large_blockdim_kernel_extILj32ELj32ELj2EiiffffEEvb20rocsparse_direction_T3_S2_llNS_24const_host_device_scalarIT7_EEPKT2_PKS2_PKT4_S2_PKT5_llS5_PT6_ll16rocsparse_order_21rocsparse_index_base_b
                                        ; -- End function
	.set _ZN9rocsparseL31bsrmm_large_blockdim_kernel_extILj32ELj32ELj2EiiffffEEvb20rocsparse_direction_T3_S2_llNS_24const_host_device_scalarIT7_EEPKT2_PKS2_PKT4_S2_PKT5_llS5_PT6_ll16rocsparse_order_21rocsparse_index_base_b.num_vgpr, 26
	.set _ZN9rocsparseL31bsrmm_large_blockdim_kernel_extILj32ELj32ELj2EiiffffEEvb20rocsparse_direction_T3_S2_llNS_24const_host_device_scalarIT7_EEPKT2_PKS2_PKT4_S2_PKT5_llS5_PT6_ll16rocsparse_order_21rocsparse_index_base_b.num_agpr, 0
	.set _ZN9rocsparseL31bsrmm_large_blockdim_kernel_extILj32ELj32ELj2EiiffffEEvb20rocsparse_direction_T3_S2_llNS_24const_host_device_scalarIT7_EEPKT2_PKS2_PKT4_S2_PKT5_llS5_PT6_ll16rocsparse_order_21rocsparse_index_base_b.numbered_sgpr, 30
	.set _ZN9rocsparseL31bsrmm_large_blockdim_kernel_extILj32ELj32ELj2EiiffffEEvb20rocsparse_direction_T3_S2_llNS_24const_host_device_scalarIT7_EEPKT2_PKS2_PKT4_S2_PKT5_llS5_PT6_ll16rocsparse_order_21rocsparse_index_base_b.num_named_barrier, 0
	.set _ZN9rocsparseL31bsrmm_large_blockdim_kernel_extILj32ELj32ELj2EiiffffEEvb20rocsparse_direction_T3_S2_llNS_24const_host_device_scalarIT7_EEPKT2_PKS2_PKT4_S2_PKT5_llS5_PT6_ll16rocsparse_order_21rocsparse_index_base_b.private_seg_size, 0
	.set _ZN9rocsparseL31bsrmm_large_blockdim_kernel_extILj32ELj32ELj2EiiffffEEvb20rocsparse_direction_T3_S2_llNS_24const_host_device_scalarIT7_EEPKT2_PKS2_PKT4_S2_PKT5_llS5_PT6_ll16rocsparse_order_21rocsparse_index_base_b.uses_vcc, 1
	.set _ZN9rocsparseL31bsrmm_large_blockdim_kernel_extILj32ELj32ELj2EiiffffEEvb20rocsparse_direction_T3_S2_llNS_24const_host_device_scalarIT7_EEPKT2_PKS2_PKT4_S2_PKT5_llS5_PT6_ll16rocsparse_order_21rocsparse_index_base_b.uses_flat_scratch, 0
	.set _ZN9rocsparseL31bsrmm_large_blockdim_kernel_extILj32ELj32ELj2EiiffffEEvb20rocsparse_direction_T3_S2_llNS_24const_host_device_scalarIT7_EEPKT2_PKS2_PKT4_S2_PKT5_llS5_PT6_ll16rocsparse_order_21rocsparse_index_base_b.has_dyn_sized_stack, 0
	.set _ZN9rocsparseL31bsrmm_large_blockdim_kernel_extILj32ELj32ELj2EiiffffEEvb20rocsparse_direction_T3_S2_llNS_24const_host_device_scalarIT7_EEPKT2_PKS2_PKT4_S2_PKT5_llS5_PT6_ll16rocsparse_order_21rocsparse_index_base_b.has_recursion, 0
	.set _ZN9rocsparseL31bsrmm_large_blockdim_kernel_extILj32ELj32ELj2EiiffffEEvb20rocsparse_direction_T3_S2_llNS_24const_host_device_scalarIT7_EEPKT2_PKS2_PKT4_S2_PKT5_llS5_PT6_ll16rocsparse_order_21rocsparse_index_base_b.has_indirect_call, 0
	.section	.AMDGPU.csdata,"",@progbits
; Kernel info:
; codeLenInByte = 1628
; TotalNumSgprs: 32
; NumVgprs: 26
; ScratchSize: 0
; MemoryBound: 0
; FloatMode: 240
; IeeeMode: 1
; LDSByteSize: 12288 bytes/workgroup (compile time only)
; SGPRBlocks: 0
; VGPRBlocks: 1
; NumSGPRsForWavesPerEU: 32
; NumVGPRsForWavesPerEU: 26
; NamedBarCnt: 0
; Occupancy: 16
; WaveLimiterHint : 1
; COMPUTE_PGM_RSRC2:SCRATCH_EN: 0
; COMPUTE_PGM_RSRC2:USER_SGPR: 2
; COMPUTE_PGM_RSRC2:TRAP_HANDLER: 0
; COMPUTE_PGM_RSRC2:TGID_X_EN: 1
; COMPUTE_PGM_RSRC2:TGID_Y_EN: 1
; COMPUTE_PGM_RSRC2:TGID_Z_EN: 0
; COMPUTE_PGM_RSRC2:TIDIG_COMP_CNT: 1
	.section	.text._ZN9rocsparseL31bsrmm_large_blockdim_kernel_extILj8ELj8ELj2EliffffEEvb20rocsparse_direction_T3_S2_llNS_24const_host_device_scalarIT7_EEPKT2_PKS2_PKT4_S2_PKT5_llS5_PT6_ll16rocsparse_order_21rocsparse_index_base_b,"axG",@progbits,_ZN9rocsparseL31bsrmm_large_blockdim_kernel_extILj8ELj8ELj2EliffffEEvb20rocsparse_direction_T3_S2_llNS_24const_host_device_scalarIT7_EEPKT2_PKS2_PKT4_S2_PKT5_llS5_PT6_ll16rocsparse_order_21rocsparse_index_base_b,comdat
	.globl	_ZN9rocsparseL31bsrmm_large_blockdim_kernel_extILj8ELj8ELj2EliffffEEvb20rocsparse_direction_T3_S2_llNS_24const_host_device_scalarIT7_EEPKT2_PKS2_PKT4_S2_PKT5_llS5_PT6_ll16rocsparse_order_21rocsparse_index_base_b ; -- Begin function _ZN9rocsparseL31bsrmm_large_blockdim_kernel_extILj8ELj8ELj2EliffffEEvb20rocsparse_direction_T3_S2_llNS_24const_host_device_scalarIT7_EEPKT2_PKS2_PKT4_S2_PKT5_llS5_PT6_ll16rocsparse_order_21rocsparse_index_base_b
	.p2align	8
	.type	_ZN9rocsparseL31bsrmm_large_blockdim_kernel_extILj8ELj8ELj2EliffffEEvb20rocsparse_direction_T3_S2_llNS_24const_host_device_scalarIT7_EEPKT2_PKS2_PKT4_S2_PKT5_llS5_PT6_ll16rocsparse_order_21rocsparse_index_base_b,@function
_ZN9rocsparseL31bsrmm_large_blockdim_kernel_extILj8ELj8ELj2EliffffEEvb20rocsparse_direction_T3_S2_llNS_24const_host_device_scalarIT7_EEPKT2_PKS2_PKT4_S2_PKT5_llS5_PT6_ll16rocsparse_order_21rocsparse_index_base_b: ; @_ZN9rocsparseL31bsrmm_large_blockdim_kernel_extILj8ELj8ELj2EliffffEEvb20rocsparse_direction_T3_S2_llNS_24const_host_device_scalarIT7_EEPKT2_PKS2_PKT4_S2_PKT5_llS5_PT6_ll16rocsparse_order_21rocsparse_index_base_b
; %bb.0:
	s_clause 0x2
	s_load_b96 s[20:22], s[0:1], 0x80
	s_load_b64 s[6:7], s[0:1], 0x20
	s_load_b64 s[24:25], s[0:1], 0x60
	s_wait_kmcnt 0x0
	s_bitcmp1_b32 s22, 0
	s_cselect_b32 s2, -1, 0
	s_delay_alu instid0(SALU_CYCLE_1)
	s_and_b32 vcc_lo, exec_lo, s2
	s_xor_b32 s2, s2, -1
	s_cbranch_vccnz .LBB4_2
; %bb.1:
	s_load_b32 s6, s[6:7], 0x0
.LBB4_2:
	s_and_not1_b32 vcc_lo, exec_lo, s2
	s_cbranch_vccnz .LBB4_4
; %bb.3:
	s_load_b32 s24, s[24:25], 0x0
.LBB4_4:
	s_wait_kmcnt 0x0
	s_cmp_eq_f32 s6, 0
	s_cselect_b32 s2, -1, 0
	s_cmp_eq_f32 s24, 1.0
	s_cselect_b32 s3, -1, 0
	s_delay_alu instid0(SALU_CYCLE_1) | instskip(NEXT) | instid1(SALU_CYCLE_1)
	s_and_b32 s2, s2, s3
	s_and_b32 vcc_lo, exec_lo, s2
	s_cbranch_vccnz .LBB4_48
; %bb.5:
	s_clause 0x1
	s_load_b128 s[8:11], s[0:1], 0x0
	s_load_b64 s[2:3], s[0:1], 0x28
	s_bfe_u32 s4, ttmp6, 0x4000c
	s_and_b32 s5, ttmp6, 15
	s_add_co_i32 s4, s4, 1
	s_mov_b64 s[26:27], 0
	s_mul_i32 s7, ttmp9, s4
	s_getreg_b32 s4, hwreg(HW_REG_IB_STS2, 6, 4)
	s_add_co_i32 s5, s5, s7
	s_cmp_eq_u32 s4, 0
	s_mov_b64 s[28:29], 0
	s_cselect_b32 s22, ttmp9, s5
	s_wait_kmcnt 0x0
	s_cmp_lt_i32 s22, s10
	s_cselect_b32 s7, -1, 0
	s_cmp_ge_i32 s22, s10
	s_cbranch_scc1 .LBB4_7
; %bb.6:
	s_ashr_i32 s23, s22, 31
	s_mov_b32 s15, 0
	s_lshl_b64 s[12:13], s[22:23], 3
	s_mov_b32 s14, s21
	s_add_nc_u64 s[12:13], s[2:3], s[12:13]
	s_load_b64 s[12:13], s[12:13], 0x0
	s_wait_kmcnt 0x0
	s_sub_nc_u64 s[28:29], s[12:13], s[14:15]
.LBB4_7:
	s_and_not1_b32 vcc_lo, exec_lo, s7
	s_cbranch_vccnz .LBB4_9
; %bb.8:
	s_ashr_i32 s23, s22, 31
	s_delay_alu instid0(SALU_CYCLE_1) | instskip(NEXT) | instid1(SALU_CYCLE_1)
	s_lshl_b64 s[12:13], s[22:23], 3
	s_add_nc_u64 s[2:3], s[2:3], s[12:13]
	s_mov_b32 s13, 0
	s_load_b64 s[2:3], s[2:3], 0x8
	s_mov_b32 s12, s21
	s_wait_kmcnt 0x0
	s_sub_nc_u64 s[26:27], s[2:3], s[12:13]
.LBB4_9:
	s_bfe_u32 s2, ttmp6, 0x40010
	s_load_b32 s10, s[0:1], 0x40
	s_add_co_i32 s2, s2, 1
	s_bfe_u32 s3, ttmp6, 0x40004
	s_mul_i32 s2, ttmp7, s2
	v_bfe_u32 v4, v0, 10, 10
	s_add_co_i32 s3, s3, s2
	s_cmp_eq_u32 s4, 0
	v_and_b32_e32 v16, 0x3ff, v0
	s_cselect_b32 s2, ttmp7, s3
	s_mov_b32 s31, 0
	v_lshl_add_u32 v2, s2, 4, v4
	v_cmp_ge_i64_e64 s2, s[28:29], s[26:27]
	s_delay_alu instid0(VALU_DEP_2)
	v_add_nc_u32_e32 v0, 8, v2
	v_cmp_gt_i32_e64 s3, s11, v2
	s_and_b32 vcc_lo, exec_lo, s2
	s_wait_kmcnt 0x0
	v_cmp_gt_i32_e64 s2, s10, v16
	v_cmp_gt_i32_e64 s4, s11, v0
	s_cbranch_vccnz .LBB4_27
; %bb.10:
	s_clause 0x1
	s_load_b128 s[12:15], s[0:1], 0x30
	s_load_b128 s[16:19], s[0:1], 0x48
	v_mul_lo_u32 v10, s10, v4
	v_dual_mov_b32 v11, 0 :: v_dual_ashrrev_i32 v3, 31, v2
	v_ashrrev_i32_e32 v1, 31, v0
	v_cmp_gt_i32_e32 vcc_lo, s10, v4
	s_delay_alu instid0(VALU_DEP_3)
	v_dual_mov_b32 v15, v11 :: v_dual_lshlrev_b32 v14, 2, v4
	v_dual_mov_b32 v21, v11 :: v_dual_lshlrev_b32 v20, 2, v16
	s_mul_i32 s30, s10, s10
	s_wait_kmcnt 0x0
	v_lshl_add_u64 v[12:13], v[10:11], 2, s[14:15]
	v_mul_u64_e32 v[6:7], s[18:19], v[2:3]
	v_mul_u64_e32 v[8:9], s[18:19], v[0:1]
	v_mul_lo_u32 v10, s10, v16
	s_delay_alu instid0(VALU_DEP_1)
	v_lshl_add_u64 v[10:11], v[10:11], 2, s[14:15]
	s_and_b32 s14, s2, vcc_lo
	s_bitcmp1_b32 s8, 0
	s_cselect_b32 s5, -1, 0
	s_cmp_eq_u32 s9, 0
	v_add_nc_u64_e32 v[10:11], v[10:11], v[14:15]
	s_cselect_b32 vcc_lo, -1, 0
	v_lshlrev_b32_e32 v17, 5, v4
	v_add_nc_u64_e32 v[4:5], v[12:13], v[20:21]
	v_lshlrev_b32_e32 v12, 5, v16
	v_add_nc_u32_e32 v13, 0x200, v14
	s_delay_alu instid0(VALU_DEP_2) | instskip(NEXT) | instid1(VALU_DEP_4)
	v_dual_cndmask_b32 v11, v5, v11 :: v_dual_add_nc_u32 v18, 0x200, v12
	v_dual_cndmask_b32 v10, v4, v10 :: v_dual_add_nc_u32 v19, 0x100, v17
	v_mov_b64_e32 v[4:5], 0
	s_delay_alu instid0(VALU_DEP_4)
	v_dual_add_nc_u32 v20, v20, v17 :: v_dual_add_nc_u32 v21, v13, v12
	s_branch .LBB4_13
.LBB4_11:                               ;   in Loop: Header=BB4_13 Depth=1
	s_or_b32 exec_lo, exec_lo, s9
.LBB4_12:                               ;   in Loop: Header=BB4_13 Depth=1
	s_delay_alu instid0(SALU_CYCLE_1) | instskip(SKIP_1) | instid1(SALU_CYCLE_1)
	s_or_b32 exec_lo, exec_lo, s8
	s_add_nc_u64 s[28:29], s[28:29], 1
	v_cmp_ge_i64_e64 s8, s[28:29], s[26:27]
	s_barrier_signal -1
	s_barrier_wait -1
	s_and_b32 vcc_lo, exec_lo, s8
	s_cbranch_vccnz .LBB4_28
.LBB4_13:                               ; =>This Loop Header: Depth=1
                                        ;     Child Loop BB4_23 Depth 2
                                        ;     Child Loop BB4_26 Depth 2
	s_and_saveexec_b32 s8, s2
	s_cbranch_execz .LBB4_18
; %bb.14:                               ;   in Loop: Header=BB4_13 Depth=1
	s_lshl_b64 s[34:35], s[28:29], 2
	s_delay_alu instid0(SALU_CYCLE_1) | instskip(SKIP_3) | instid1(SALU_CYCLE_1)
	s_add_nc_u64 s[34:35], s[12:13], s[34:35]
	s_load_b32 s9, s[34:35], 0x0
	s_wait_kmcnt 0x0
	s_sub_co_i32 s9, s9, s21
	v_mad_u32 v14, s9, s10, v16
	s_delay_alu instid0(VALU_DEP_1) | instskip(NEXT) | instid1(VALU_DEP_1)
	v_ashrrev_i32_e32 v15, 31, v14
	v_mul_u64_e32 v[12:13], s[18:19], v[14:15]
	v_lshl_add_u64 v[14:15], v[14:15], 2, s[16:17]
	s_delay_alu instid0(VALU_DEP_2)
	v_lshl_add_u64 v[12:13], v[12:13], 2, s[16:17]
	s_and_saveexec_b32 s9, s3
	s_cbranch_execz .LBB4_16
; %bb.15:                               ;   in Loop: Header=BB4_13 Depth=1
	s_delay_alu instid0(VALU_DEP_1) | instskip(SKIP_1) | instid1(VALU_DEP_1)
	v_lshl_add_u64 v[22:23], v[2:3], 2, v[12:13]
	v_lshl_add_u64 v[24:25], v[6:7], 2, v[14:15]
	v_dual_cndmask_b32 v23, v23, v25, s5 :: v_dual_cndmask_b32 v22, v22, v24, s5
	global_load_b32 v22, v[22:23], off
	s_wait_loadcnt 0x0
	ds_store_b32 v20, v22
.LBB4_16:                               ;   in Loop: Header=BB4_13 Depth=1
	s_or_b32 exec_lo, exec_lo, s9
	s_delay_alu instid0(SALU_CYCLE_1)
	s_and_b32 exec_lo, exec_lo, s4
	s_cbranch_execz .LBB4_18
; %bb.17:                               ;   in Loop: Header=BB4_13 Depth=1
	v_lshl_add_u64 v[14:15], v[8:9], 2, v[14:15]
	v_lshl_add_u64 v[12:13], v[0:1], 2, v[12:13]
	s_delay_alu instid0(VALU_DEP_1)
	v_dual_cndmask_b32 v13, v13, v15, s5 :: v_dual_cndmask_b32 v12, v12, v14, s5
	global_load_b32 v12, v[12:13], off
	s_wait_loadcnt 0x0
	ds_store_b32 v20, v12 offset:256
.LBB4_18:                               ;   in Loop: Header=BB4_13 Depth=1
	s_or_b32 exec_lo, exec_lo, s8
	s_and_saveexec_b32 s8, s14
	s_cbranch_execz .LBB4_20
; %bb.19:                               ;   in Loop: Header=BB4_13 Depth=1
	s_mul_u64 s[34:35], s[28:29], s[30:31]
	s_delay_alu instid0(SALU_CYCLE_1)
	v_lshl_add_u64 v[12:13], s[34:35], 2, v[10:11]
	global_load_b32 v12, v[12:13], off
	s_wait_loadcnt 0x0
	ds_store_b32 v21, v12
.LBB4_20:                               ;   in Loop: Header=BB4_13 Depth=1
	s_or_b32 exec_lo, exec_lo, s8
	s_wait_dscnt 0x0
	s_barrier_signal -1
	s_barrier_wait -1
	s_and_saveexec_b32 s8, s2
	s_cbranch_execz .LBB4_12
; %bb.21:                               ;   in Loop: Header=BB4_13 Depth=1
	s_and_saveexec_b32 s9, s3
	s_cbranch_execz .LBB4_24
; %bb.22:                               ;   in Loop: Header=BB4_13 Depth=1
	v_dual_mov_b32 v12, v18 :: v_dual_mov_b32 v13, v17
	s_mov_b32 s15, s10
.LBB4_23:                               ;   Parent Loop BB4_13 Depth=1
                                        ; =>  This Inner Loop Header: Depth=2
	ds_load_b32 v14, v12
	ds_load_b32 v15, v13
	v_dual_add_nc_u32 v13, 4, v13 :: v_dual_add_nc_u32 v12, 4, v12
	s_add_co_i32 s15, s15, -1
	s_delay_alu instid0(SALU_CYCLE_1)
	s_cmp_lg_u32 s15, 0
	s_wait_dscnt 0x0
	v_fma_f32 v4, v14, v15, v4
	s_cbranch_scc1 .LBB4_23
.LBB4_24:                               ;   in Loop: Header=BB4_13 Depth=1
	s_or_b32 exec_lo, exec_lo, s9
	s_and_saveexec_b32 s9, s4
	s_cbranch_execz .LBB4_11
; %bb.25:                               ;   in Loop: Header=BB4_13 Depth=1
	v_dual_mov_b32 v12, v18 :: v_dual_mov_b32 v13, v19
	s_mov_b32 s15, s10
.LBB4_26:                               ;   Parent Loop BB4_13 Depth=1
                                        ; =>  This Inner Loop Header: Depth=2
	ds_load_b32 v14, v12
	ds_load_b32 v15, v13
	v_dual_add_nc_u32 v13, 4, v13 :: v_dual_add_nc_u32 v12, 4, v12
	s_add_co_i32 s15, s15, -1
	s_delay_alu instid0(SALU_CYCLE_1)
	s_cmp_lg_u32 s15, 0
	s_wait_dscnt 0x0
	v_fma_f32 v5, v14, v15, v5
	s_cbranch_scc1 .LBB4_26
	s_branch .LBB4_11
.LBB4_27:
	v_mov_b64_e32 v[4:5], 0
.LBB4_28:
	s_load_b64 s[4:5], s[0:1], 0x68
	s_and_b32 s2, s7, s2
	s_delay_alu instid0(SALU_CYCLE_1)
	s_and_saveexec_b32 s3, s2
	s_cbranch_execz .LBB4_48
; %bb.29:
	s_load_b64 s[2:3], s[0:1], 0x70
	v_mad_u32 v6, s10, s22, v16
	s_cmp_neq_f32 s24, 0
	s_wait_xcnt 0x0
	s_mov_b32 s0, exec_lo
	s_cselect_b32 s7, -1, 0
	s_cmp_lg_u32 s20, 1
	s_cselect_b32 s1, -1, 0
	s_delay_alu instid0(VALU_DEP_1) | instskip(SKIP_1) | instid1(VALU_DEP_1)
	v_ashrrev_i32_e32 v7, 31, v6
	s_wait_kmcnt 0x0
	v_mul_u64_e32 v[8:9], s[2:3], v[6:7]
	v_lshl_add_u64 v[6:7], v[6:7], 2, s[4:5]
	s_delay_alu instid0(VALU_DEP_2)
	v_lshl_add_u64 v[8:9], v[8:9], 2, s[4:5]
	v_cmpx_gt_i32_e64 s11, v2
	s_cbranch_execz .LBB4_41
; %bb.30:
	v_ashrrev_i32_e32 v3, 31, v2
	s_and_b32 vcc_lo, exec_lo, s7
	s_cbranch_vccz .LBB4_36
; %bb.31:
	s_and_b32 vcc_lo, exec_lo, s1
	s_mov_b32 s4, -1
	s_cbranch_vccz .LBB4_33
; %bb.32:
	v_lshl_add_u64 v[10:11], v[2:3], 2, v[8:9]
	v_mul_f32_e32 v12, s6, v4
	s_mov_b32 s4, 0
	global_load_b32 v1, v[10:11], off
	s_wait_loadcnt 0x0
	v_fmac_f32_e32 v12, s24, v1
	global_store_b32 v[10:11], v12, off
.LBB4_33:
	s_and_not1_b32 vcc_lo, exec_lo, s4
	s_cbranch_vccnz .LBB4_35
; %bb.34:
	s_wait_xcnt 0x0
	v_mul_u64_e32 v[10:11], s[2:3], v[2:3]
	v_mul_f32_e32 v12, s6, v4
	s_delay_alu instid0(VALU_DEP_2)
	v_lshl_add_u64 v[10:11], v[10:11], 2, v[6:7]
	global_load_b32 v1, v[10:11], off
	s_wait_loadcnt 0x0
	v_fmac_f32_e32 v12, s24, v1
	global_store_b32 v[10:11], v12, off
.LBB4_35:
	s_cbranch_execz .LBB4_37
	s_branch .LBB4_41
.LBB4_36:
.LBB4_37:
	v_mul_f32_e32 v1, s6, v4
	s_and_b32 vcc_lo, exec_lo, s1
	s_mov_b32 s4, -1
	s_cbranch_vccz .LBB4_39
; %bb.38:
	s_wait_xcnt 0x0
	v_lshl_add_u64 v[10:11], v[2:3], 2, v[8:9]
	s_mov_b32 s4, 0
	global_store_b32 v[10:11], v1, off
.LBB4_39:
	s_and_not1_b32 vcc_lo, exec_lo, s4
	s_cbranch_vccnz .LBB4_41
; %bb.40:
	v_mul_u64_e32 v[2:3], s[2:3], v[2:3]
	s_delay_alu instid0(VALU_DEP_1)
	v_lshl_add_u64 v[2:3], v[2:3], 2, v[6:7]
	global_store_b32 v[2:3], v1, off
.LBB4_41:
	s_wait_xcnt 0x0
	s_or_b32 exec_lo, exec_lo, s0
	v_cmp_gt_i32_e32 vcc_lo, s11, v0
	s_and_b32 exec_lo, exec_lo, vcc_lo
	s_cbranch_execz .LBB4_48
; %bb.42:
	v_cndmask_b32_e64 v2, 0, 1, s1
	v_ashrrev_i32_e32 v1, 31, v0
	s_and_not1_b32 vcc_lo, exec_lo, s7
	s_delay_alu instid0(VALU_DEP_2)
	v_cmp_ne_u32_e64 s0, 1, v2
	s_cbranch_vccnz .LBB4_49
; %bb.43:
	s_and_b32 vcc_lo, exec_lo, s0
	s_mov_b32 s0, -1
	s_cbranch_vccnz .LBB4_45
; %bb.44:
	v_lshl_add_u64 v[2:3], v[0:1], 2, v[8:9]
	v_mul_f32_e32 v10, s6, v5
	s_mov_b32 s0, 0
	global_load_b32 v4, v[2:3], off
	s_wait_loadcnt 0x0
	v_fmac_f32_e32 v10, s24, v4
	global_store_b32 v[2:3], v10, off
.LBB4_45:
	s_and_not1_b32 vcc_lo, exec_lo, s0
	s_cbranch_vccnz .LBB4_47
; %bb.46:
	s_wait_xcnt 0x0
	v_mul_u64_e32 v[2:3], s[2:3], v[0:1]
	v_mul_f32_e32 v10, s6, v5
	s_delay_alu instid0(VALU_DEP_2)
	v_lshl_add_u64 v[2:3], v[2:3], 2, v[6:7]
	global_load_b32 v4, v[2:3], off
	s_wait_loadcnt 0x0
	v_fmac_f32_e32 v10, s24, v4
	global_store_b32 v[2:3], v10, off
.LBB4_47:
	s_cbranch_execz .LBB4_50
.LBB4_48:
	s_endpgm
.LBB4_49:
.LBB4_50:
	s_wait_xcnt 0x0
	v_mul_f32_e32 v2, s6, v5
	s_and_not1_b32 vcc_lo, exec_lo, s1
	s_mov_b32 s0, -1
	s_cbranch_vccnz .LBB4_52
; %bb.51:
	v_lshl_add_u64 v[4:5], v[0:1], 2, v[8:9]
	s_mov_b32 s0, 0
	global_store_b32 v[4:5], v2, off
.LBB4_52:
	s_and_not1_b32 vcc_lo, exec_lo, s0
	s_cbranch_vccnz .LBB4_48
; %bb.53:
	v_mul_u64_e32 v[0:1], s[2:3], v[0:1]
	s_delay_alu instid0(VALU_DEP_1)
	v_lshl_add_u64 v[0:1], v[0:1], 2, v[6:7]
	global_store_b32 v[0:1], v2, off
	s_endpgm
	.section	.rodata,"a",@progbits
	.p2align	6, 0x0
	.amdhsa_kernel _ZN9rocsparseL31bsrmm_large_blockdim_kernel_extILj8ELj8ELj2EliffffEEvb20rocsparse_direction_T3_S2_llNS_24const_host_device_scalarIT7_EEPKT2_PKS2_PKT4_S2_PKT5_llS5_PT6_ll16rocsparse_order_21rocsparse_index_base_b
		.amdhsa_group_segment_fixed_size 768
		.amdhsa_private_segment_fixed_size 0
		.amdhsa_kernarg_size 140
		.amdhsa_user_sgpr_count 2
		.amdhsa_user_sgpr_dispatch_ptr 0
		.amdhsa_user_sgpr_queue_ptr 0
		.amdhsa_user_sgpr_kernarg_segment_ptr 1
		.amdhsa_user_sgpr_dispatch_id 0
		.amdhsa_user_sgpr_kernarg_preload_length 0
		.amdhsa_user_sgpr_kernarg_preload_offset 0
		.amdhsa_user_sgpr_private_segment_size 0
		.amdhsa_wavefront_size32 1
		.amdhsa_uses_dynamic_stack 0
		.amdhsa_enable_private_segment 0
		.amdhsa_system_sgpr_workgroup_id_x 1
		.amdhsa_system_sgpr_workgroup_id_y 1
		.amdhsa_system_sgpr_workgroup_id_z 0
		.amdhsa_system_sgpr_workgroup_info 0
		.amdhsa_system_vgpr_workitem_id 1
		.amdhsa_next_free_vgpr 26
		.amdhsa_next_free_sgpr 36
		.amdhsa_named_barrier_count 0
		.amdhsa_reserve_vcc 1
		.amdhsa_float_round_mode_32 0
		.amdhsa_float_round_mode_16_64 0
		.amdhsa_float_denorm_mode_32 3
		.amdhsa_float_denorm_mode_16_64 3
		.amdhsa_fp16_overflow 0
		.amdhsa_memory_ordered 1
		.amdhsa_forward_progress 1
		.amdhsa_inst_pref_size 14
		.amdhsa_round_robin_scheduling 0
		.amdhsa_exception_fp_ieee_invalid_op 0
		.amdhsa_exception_fp_denorm_src 0
		.amdhsa_exception_fp_ieee_div_zero 0
		.amdhsa_exception_fp_ieee_overflow 0
		.amdhsa_exception_fp_ieee_underflow 0
		.amdhsa_exception_fp_ieee_inexact 0
		.amdhsa_exception_int_div_zero 0
	.end_amdhsa_kernel
	.section	.text._ZN9rocsparseL31bsrmm_large_blockdim_kernel_extILj8ELj8ELj2EliffffEEvb20rocsparse_direction_T3_S2_llNS_24const_host_device_scalarIT7_EEPKT2_PKS2_PKT4_S2_PKT5_llS5_PT6_ll16rocsparse_order_21rocsparse_index_base_b,"axG",@progbits,_ZN9rocsparseL31bsrmm_large_blockdim_kernel_extILj8ELj8ELj2EliffffEEvb20rocsparse_direction_T3_S2_llNS_24const_host_device_scalarIT7_EEPKT2_PKS2_PKT4_S2_PKT5_llS5_PT6_ll16rocsparse_order_21rocsparse_index_base_b,comdat
.Lfunc_end4:
	.size	_ZN9rocsparseL31bsrmm_large_blockdim_kernel_extILj8ELj8ELj2EliffffEEvb20rocsparse_direction_T3_S2_llNS_24const_host_device_scalarIT7_EEPKT2_PKS2_PKT4_S2_PKT5_llS5_PT6_ll16rocsparse_order_21rocsparse_index_base_b, .Lfunc_end4-_ZN9rocsparseL31bsrmm_large_blockdim_kernel_extILj8ELj8ELj2EliffffEEvb20rocsparse_direction_T3_S2_llNS_24const_host_device_scalarIT7_EEPKT2_PKS2_PKT4_S2_PKT5_llS5_PT6_ll16rocsparse_order_21rocsparse_index_base_b
                                        ; -- End function
	.set _ZN9rocsparseL31bsrmm_large_blockdim_kernel_extILj8ELj8ELj2EliffffEEvb20rocsparse_direction_T3_S2_llNS_24const_host_device_scalarIT7_EEPKT2_PKS2_PKT4_S2_PKT5_llS5_PT6_ll16rocsparse_order_21rocsparse_index_base_b.num_vgpr, 26
	.set _ZN9rocsparseL31bsrmm_large_blockdim_kernel_extILj8ELj8ELj2EliffffEEvb20rocsparse_direction_T3_S2_llNS_24const_host_device_scalarIT7_EEPKT2_PKS2_PKT4_S2_PKT5_llS5_PT6_ll16rocsparse_order_21rocsparse_index_base_b.num_agpr, 0
	.set _ZN9rocsparseL31bsrmm_large_blockdim_kernel_extILj8ELj8ELj2EliffffEEvb20rocsparse_direction_T3_S2_llNS_24const_host_device_scalarIT7_EEPKT2_PKS2_PKT4_S2_PKT5_llS5_PT6_ll16rocsparse_order_21rocsparse_index_base_b.numbered_sgpr, 36
	.set _ZN9rocsparseL31bsrmm_large_blockdim_kernel_extILj8ELj8ELj2EliffffEEvb20rocsparse_direction_T3_S2_llNS_24const_host_device_scalarIT7_EEPKT2_PKS2_PKT4_S2_PKT5_llS5_PT6_ll16rocsparse_order_21rocsparse_index_base_b.num_named_barrier, 0
	.set _ZN9rocsparseL31bsrmm_large_blockdim_kernel_extILj8ELj8ELj2EliffffEEvb20rocsparse_direction_T3_S2_llNS_24const_host_device_scalarIT7_EEPKT2_PKS2_PKT4_S2_PKT5_llS5_PT6_ll16rocsparse_order_21rocsparse_index_base_b.private_seg_size, 0
	.set _ZN9rocsparseL31bsrmm_large_blockdim_kernel_extILj8ELj8ELj2EliffffEEvb20rocsparse_direction_T3_S2_llNS_24const_host_device_scalarIT7_EEPKT2_PKS2_PKT4_S2_PKT5_llS5_PT6_ll16rocsparse_order_21rocsparse_index_base_b.uses_vcc, 1
	.set _ZN9rocsparseL31bsrmm_large_blockdim_kernel_extILj8ELj8ELj2EliffffEEvb20rocsparse_direction_T3_S2_llNS_24const_host_device_scalarIT7_EEPKT2_PKS2_PKT4_S2_PKT5_llS5_PT6_ll16rocsparse_order_21rocsparse_index_base_b.uses_flat_scratch, 0
	.set _ZN9rocsparseL31bsrmm_large_blockdim_kernel_extILj8ELj8ELj2EliffffEEvb20rocsparse_direction_T3_S2_llNS_24const_host_device_scalarIT7_EEPKT2_PKS2_PKT4_S2_PKT5_llS5_PT6_ll16rocsparse_order_21rocsparse_index_base_b.has_dyn_sized_stack, 0
	.set _ZN9rocsparseL31bsrmm_large_blockdim_kernel_extILj8ELj8ELj2EliffffEEvb20rocsparse_direction_T3_S2_llNS_24const_host_device_scalarIT7_EEPKT2_PKS2_PKT4_S2_PKT5_llS5_PT6_ll16rocsparse_order_21rocsparse_index_base_b.has_recursion, 0
	.set _ZN9rocsparseL31bsrmm_large_blockdim_kernel_extILj8ELj8ELj2EliffffEEvb20rocsparse_direction_T3_S2_llNS_24const_host_device_scalarIT7_EEPKT2_PKS2_PKT4_S2_PKT5_llS5_PT6_ll16rocsparse_order_21rocsparse_index_base_b.has_indirect_call, 0
	.section	.AMDGPU.csdata,"",@progbits
; Kernel info:
; codeLenInByte = 1712
; TotalNumSgprs: 38
; NumVgprs: 26
; ScratchSize: 0
; MemoryBound: 0
; FloatMode: 240
; IeeeMode: 1
; LDSByteSize: 768 bytes/workgroup (compile time only)
; SGPRBlocks: 0
; VGPRBlocks: 1
; NumSGPRsForWavesPerEU: 38
; NumVGPRsForWavesPerEU: 26
; NamedBarCnt: 0
; Occupancy: 16
; WaveLimiterHint : 1
; COMPUTE_PGM_RSRC2:SCRATCH_EN: 0
; COMPUTE_PGM_RSRC2:USER_SGPR: 2
; COMPUTE_PGM_RSRC2:TRAP_HANDLER: 0
; COMPUTE_PGM_RSRC2:TGID_X_EN: 1
; COMPUTE_PGM_RSRC2:TGID_Y_EN: 1
; COMPUTE_PGM_RSRC2:TGID_Z_EN: 0
; COMPUTE_PGM_RSRC2:TIDIG_COMP_CNT: 1
	.section	.text._ZN9rocsparseL31bsrmm_large_blockdim_kernel_extILj4ELj16ELj2EliffffEEvb20rocsparse_direction_T3_S2_llNS_24const_host_device_scalarIT7_EEPKT2_PKS2_PKT4_S2_PKT5_llS5_PT6_ll16rocsparse_order_21rocsparse_index_base_b,"axG",@progbits,_ZN9rocsparseL31bsrmm_large_blockdim_kernel_extILj4ELj16ELj2EliffffEEvb20rocsparse_direction_T3_S2_llNS_24const_host_device_scalarIT7_EEPKT2_PKS2_PKT4_S2_PKT5_llS5_PT6_ll16rocsparse_order_21rocsparse_index_base_b,comdat
	.globl	_ZN9rocsparseL31bsrmm_large_blockdim_kernel_extILj4ELj16ELj2EliffffEEvb20rocsparse_direction_T3_S2_llNS_24const_host_device_scalarIT7_EEPKT2_PKS2_PKT4_S2_PKT5_llS5_PT6_ll16rocsparse_order_21rocsparse_index_base_b ; -- Begin function _ZN9rocsparseL31bsrmm_large_blockdim_kernel_extILj4ELj16ELj2EliffffEEvb20rocsparse_direction_T3_S2_llNS_24const_host_device_scalarIT7_EEPKT2_PKS2_PKT4_S2_PKT5_llS5_PT6_ll16rocsparse_order_21rocsparse_index_base_b
	.p2align	8
	.type	_ZN9rocsparseL31bsrmm_large_blockdim_kernel_extILj4ELj16ELj2EliffffEEvb20rocsparse_direction_T3_S2_llNS_24const_host_device_scalarIT7_EEPKT2_PKS2_PKT4_S2_PKT5_llS5_PT6_ll16rocsparse_order_21rocsparse_index_base_b,@function
_ZN9rocsparseL31bsrmm_large_blockdim_kernel_extILj4ELj16ELj2EliffffEEvb20rocsparse_direction_T3_S2_llNS_24const_host_device_scalarIT7_EEPKT2_PKS2_PKT4_S2_PKT5_llS5_PT6_ll16rocsparse_order_21rocsparse_index_base_b: ; @_ZN9rocsparseL31bsrmm_large_blockdim_kernel_extILj4ELj16ELj2EliffffEEvb20rocsparse_direction_T3_S2_llNS_24const_host_device_scalarIT7_EEPKT2_PKS2_PKT4_S2_PKT5_llS5_PT6_ll16rocsparse_order_21rocsparse_index_base_b
; %bb.0:
	s_clause 0x2
	s_load_b96 s[20:22], s[0:1], 0x80
	s_load_b64 s[6:7], s[0:1], 0x20
	s_load_b64 s[24:25], s[0:1], 0x60
	s_wait_kmcnt 0x0
	s_bitcmp1_b32 s22, 0
	s_cselect_b32 s2, -1, 0
	s_delay_alu instid0(SALU_CYCLE_1)
	s_and_b32 vcc_lo, exec_lo, s2
	s_xor_b32 s2, s2, -1
	s_cbranch_vccnz .LBB5_2
; %bb.1:
	s_load_b32 s6, s[6:7], 0x0
.LBB5_2:
	s_and_not1_b32 vcc_lo, exec_lo, s2
	s_cbranch_vccnz .LBB5_4
; %bb.3:
	s_load_b32 s24, s[24:25], 0x0
.LBB5_4:
	s_wait_kmcnt 0x0
	s_cmp_eq_f32 s6, 0
	s_cselect_b32 s2, -1, 0
	s_cmp_eq_f32 s24, 1.0
	s_cselect_b32 s3, -1, 0
	s_delay_alu instid0(SALU_CYCLE_1) | instskip(NEXT) | instid1(SALU_CYCLE_1)
	s_and_b32 s2, s2, s3
	s_and_b32 vcc_lo, exec_lo, s2
	s_cbranch_vccnz .LBB5_48
; %bb.5:
	s_clause 0x1
	s_load_b128 s[8:11], s[0:1], 0x0
	s_load_b64 s[2:3], s[0:1], 0x28
	s_bfe_u32 s4, ttmp6, 0x4000c
	s_and_b32 s5, ttmp6, 15
	s_add_co_i32 s4, s4, 1
	s_mov_b64 s[26:27], 0
	s_mul_i32 s7, ttmp9, s4
	s_getreg_b32 s4, hwreg(HW_REG_IB_STS2, 6, 4)
	s_add_co_i32 s5, s5, s7
	s_cmp_eq_u32 s4, 0
	s_mov_b64 s[28:29], 0
	s_cselect_b32 s22, ttmp9, s5
	s_wait_kmcnt 0x0
	s_cmp_lt_i32 s22, s10
	s_cselect_b32 s7, -1, 0
	s_cmp_ge_i32 s22, s10
	s_cbranch_scc1 .LBB5_7
; %bb.6:
	s_ashr_i32 s23, s22, 31
	s_mov_b32 s15, 0
	s_lshl_b64 s[12:13], s[22:23], 3
	s_mov_b32 s14, s21
	s_add_nc_u64 s[12:13], s[2:3], s[12:13]
	s_load_b64 s[12:13], s[12:13], 0x0
	s_wait_kmcnt 0x0
	s_sub_nc_u64 s[28:29], s[12:13], s[14:15]
.LBB5_7:
	s_and_not1_b32 vcc_lo, exec_lo, s7
	s_cbranch_vccnz .LBB5_9
; %bb.8:
	s_ashr_i32 s23, s22, 31
	s_delay_alu instid0(SALU_CYCLE_1) | instskip(NEXT) | instid1(SALU_CYCLE_1)
	s_lshl_b64 s[12:13], s[22:23], 3
	s_add_nc_u64 s[2:3], s[2:3], s[12:13]
	s_mov_b32 s13, 0
	s_load_b64 s[2:3], s[2:3], 0x8
	s_mov_b32 s12, s21
	s_wait_kmcnt 0x0
	s_sub_nc_u64 s[26:27], s[2:3], s[12:13]
.LBB5_9:
	s_bfe_u32 s2, ttmp6, 0x40010
	s_load_b32 s10, s[0:1], 0x40
	s_add_co_i32 s2, s2, 1
	s_bfe_u32 s3, ttmp6, 0x40004
	s_mul_i32 s2, ttmp7, s2
	v_bfe_u32 v4, v0, 10, 10
	s_add_co_i32 s3, s3, s2
	s_cmp_eq_u32 s4, 0
	v_and_b32_e32 v16, 0x3ff, v0
	s_cselect_b32 s2, ttmp7, s3
	s_mov_b32 s31, 0
	v_lshl_add_u32 v2, s2, 5, v4
	v_cmp_ge_i64_e64 s2, s[28:29], s[26:27]
	s_delay_alu instid0(VALU_DEP_2)
	v_add_nc_u32_e32 v0, 16, v2
	v_cmp_gt_i32_e64 s3, s11, v2
	s_and_b32 vcc_lo, exec_lo, s2
	s_wait_kmcnt 0x0
	v_cmp_gt_i32_e64 s2, s10, v16
	v_cmp_gt_i32_e64 s4, s11, v0
	s_cbranch_vccnz .LBB5_27
; %bb.10:
	s_clause 0x1
	s_load_b128 s[12:15], s[0:1], 0x30
	s_load_b128 s[16:19], s[0:1], 0x48
	v_mul_lo_u32 v10, s10, v4
	v_dual_mov_b32 v11, 0 :: v_dual_ashrrev_i32 v3, 31, v2
	v_ashrrev_i32_e32 v1, 31, v0
	v_cmp_gt_i32_e32 vcc_lo, s10, v4
	s_delay_alu instid0(VALU_DEP_3)
	v_dual_mov_b32 v15, v11 :: v_dual_lshlrev_b32 v14, 2, v4
	v_dual_mov_b32 v21, v11 :: v_dual_lshlrev_b32 v20, 2, v16
	s_mul_i32 s30, s10, s10
	s_wait_kmcnt 0x0
	v_lshl_add_u64 v[12:13], v[10:11], 2, s[14:15]
	v_mul_u64_e32 v[6:7], s[18:19], v[2:3]
	v_mul_u64_e32 v[8:9], s[18:19], v[0:1]
	v_mul_lo_u32 v10, s10, v16
	s_delay_alu instid0(VALU_DEP_1)
	v_lshl_add_u64 v[10:11], v[10:11], 2, s[14:15]
	s_and_b32 s14, s2, vcc_lo
	s_bitcmp1_b32 s8, 0
	s_cselect_b32 s5, -1, 0
	s_cmp_eq_u32 s9, 0
	v_add_nc_u64_e32 v[10:11], v[10:11], v[14:15]
	s_cselect_b32 vcc_lo, -1, 0
	v_lshlrev_b32_e32 v17, 4, v4
	v_add_nc_u64_e32 v[4:5], v[12:13], v[20:21]
	v_lshlrev_b32_e32 v12, 4, v16
	v_add_nc_u32_e32 v13, 0x200, v14
	s_delay_alu instid0(VALU_DEP_2) | instskip(NEXT) | instid1(VALU_DEP_4)
	v_dual_cndmask_b32 v11, v5, v11 :: v_dual_add_nc_u32 v18, 0x200, v12
	v_dual_cndmask_b32 v10, v4, v10 :: v_dual_add_nc_u32 v19, 0x100, v17
	v_mov_b64_e32 v[4:5], 0
	s_delay_alu instid0(VALU_DEP_4)
	v_dual_add_nc_u32 v20, v20, v17 :: v_dual_add_nc_u32 v21, v13, v12
	s_branch .LBB5_13
.LBB5_11:                               ;   in Loop: Header=BB5_13 Depth=1
	s_or_b32 exec_lo, exec_lo, s9
.LBB5_12:                               ;   in Loop: Header=BB5_13 Depth=1
	s_delay_alu instid0(SALU_CYCLE_1) | instskip(SKIP_1) | instid1(SALU_CYCLE_1)
	s_or_b32 exec_lo, exec_lo, s8
	s_add_nc_u64 s[28:29], s[28:29], 1
	v_cmp_ge_i64_e64 s8, s[28:29], s[26:27]
	s_barrier_signal -1
	s_barrier_wait -1
	s_and_b32 vcc_lo, exec_lo, s8
	s_cbranch_vccnz .LBB5_28
.LBB5_13:                               ; =>This Loop Header: Depth=1
                                        ;     Child Loop BB5_23 Depth 2
                                        ;     Child Loop BB5_26 Depth 2
	s_and_saveexec_b32 s8, s2
	s_cbranch_execz .LBB5_18
; %bb.14:                               ;   in Loop: Header=BB5_13 Depth=1
	s_lshl_b64 s[34:35], s[28:29], 2
	s_delay_alu instid0(SALU_CYCLE_1) | instskip(SKIP_3) | instid1(SALU_CYCLE_1)
	s_add_nc_u64 s[34:35], s[12:13], s[34:35]
	s_load_b32 s9, s[34:35], 0x0
	s_wait_kmcnt 0x0
	s_sub_co_i32 s9, s9, s21
	v_mad_u32 v14, s9, s10, v16
	s_delay_alu instid0(VALU_DEP_1) | instskip(NEXT) | instid1(VALU_DEP_1)
	v_ashrrev_i32_e32 v15, 31, v14
	v_mul_u64_e32 v[12:13], s[18:19], v[14:15]
	v_lshl_add_u64 v[14:15], v[14:15], 2, s[16:17]
	s_delay_alu instid0(VALU_DEP_2)
	v_lshl_add_u64 v[12:13], v[12:13], 2, s[16:17]
	s_and_saveexec_b32 s9, s3
	s_cbranch_execz .LBB5_16
; %bb.15:                               ;   in Loop: Header=BB5_13 Depth=1
	s_delay_alu instid0(VALU_DEP_1) | instskip(SKIP_1) | instid1(VALU_DEP_1)
	v_lshl_add_u64 v[22:23], v[2:3], 2, v[12:13]
	v_lshl_add_u64 v[24:25], v[6:7], 2, v[14:15]
	v_dual_cndmask_b32 v23, v23, v25, s5 :: v_dual_cndmask_b32 v22, v22, v24, s5
	global_load_b32 v22, v[22:23], off
	s_wait_loadcnt 0x0
	ds_store_b32 v20, v22
.LBB5_16:                               ;   in Loop: Header=BB5_13 Depth=1
	s_or_b32 exec_lo, exec_lo, s9
	s_delay_alu instid0(SALU_CYCLE_1)
	s_and_b32 exec_lo, exec_lo, s4
	s_cbranch_execz .LBB5_18
; %bb.17:                               ;   in Loop: Header=BB5_13 Depth=1
	v_lshl_add_u64 v[14:15], v[8:9], 2, v[14:15]
	v_lshl_add_u64 v[12:13], v[0:1], 2, v[12:13]
	s_delay_alu instid0(VALU_DEP_1)
	v_dual_cndmask_b32 v13, v13, v15, s5 :: v_dual_cndmask_b32 v12, v12, v14, s5
	global_load_b32 v12, v[12:13], off
	s_wait_loadcnt 0x0
	ds_store_b32 v20, v12 offset:256
.LBB5_18:                               ;   in Loop: Header=BB5_13 Depth=1
	s_or_b32 exec_lo, exec_lo, s8
	s_and_saveexec_b32 s8, s14
	s_cbranch_execz .LBB5_20
; %bb.19:                               ;   in Loop: Header=BB5_13 Depth=1
	s_mul_u64 s[34:35], s[28:29], s[30:31]
	s_delay_alu instid0(SALU_CYCLE_1)
	v_lshl_add_u64 v[12:13], s[34:35], 2, v[10:11]
	global_load_b32 v12, v[12:13], off
	s_wait_loadcnt 0x0
	ds_store_b32 v21, v12
.LBB5_20:                               ;   in Loop: Header=BB5_13 Depth=1
	s_or_b32 exec_lo, exec_lo, s8
	s_wait_dscnt 0x0
	s_barrier_signal -1
	s_barrier_wait -1
	s_and_saveexec_b32 s8, s2
	s_cbranch_execz .LBB5_12
; %bb.21:                               ;   in Loop: Header=BB5_13 Depth=1
	s_and_saveexec_b32 s9, s3
	s_cbranch_execz .LBB5_24
; %bb.22:                               ;   in Loop: Header=BB5_13 Depth=1
	v_dual_mov_b32 v12, v18 :: v_dual_mov_b32 v13, v17
	s_mov_b32 s15, s10
.LBB5_23:                               ;   Parent Loop BB5_13 Depth=1
                                        ; =>  This Inner Loop Header: Depth=2
	ds_load_b32 v14, v12
	ds_load_b32 v15, v13
	v_dual_add_nc_u32 v13, 4, v13 :: v_dual_add_nc_u32 v12, 4, v12
	s_add_co_i32 s15, s15, -1
	s_delay_alu instid0(SALU_CYCLE_1)
	s_cmp_lg_u32 s15, 0
	s_wait_dscnt 0x0
	v_fma_f32 v4, v14, v15, v4
	s_cbranch_scc1 .LBB5_23
.LBB5_24:                               ;   in Loop: Header=BB5_13 Depth=1
	s_or_b32 exec_lo, exec_lo, s9
	s_and_saveexec_b32 s9, s4
	s_cbranch_execz .LBB5_11
; %bb.25:                               ;   in Loop: Header=BB5_13 Depth=1
	v_dual_mov_b32 v12, v18 :: v_dual_mov_b32 v13, v19
	s_mov_b32 s15, s10
.LBB5_26:                               ;   Parent Loop BB5_13 Depth=1
                                        ; =>  This Inner Loop Header: Depth=2
	ds_load_b32 v14, v12
	ds_load_b32 v15, v13
	v_dual_add_nc_u32 v13, 4, v13 :: v_dual_add_nc_u32 v12, 4, v12
	s_add_co_i32 s15, s15, -1
	s_delay_alu instid0(SALU_CYCLE_1)
	s_cmp_lg_u32 s15, 0
	s_wait_dscnt 0x0
	v_fma_f32 v5, v14, v15, v5
	s_cbranch_scc1 .LBB5_26
	s_branch .LBB5_11
.LBB5_27:
	v_mov_b64_e32 v[4:5], 0
.LBB5_28:
	s_load_b64 s[4:5], s[0:1], 0x68
	s_and_b32 s2, s7, s2
	s_delay_alu instid0(SALU_CYCLE_1)
	s_and_saveexec_b32 s3, s2
	s_cbranch_execz .LBB5_48
; %bb.29:
	s_load_b64 s[2:3], s[0:1], 0x70
	v_mad_u32 v6, s10, s22, v16
	s_cmp_neq_f32 s24, 0
	s_wait_xcnt 0x0
	s_mov_b32 s0, exec_lo
	s_cselect_b32 s7, -1, 0
	s_cmp_lg_u32 s20, 1
	s_cselect_b32 s1, -1, 0
	s_delay_alu instid0(VALU_DEP_1) | instskip(SKIP_1) | instid1(VALU_DEP_1)
	v_ashrrev_i32_e32 v7, 31, v6
	s_wait_kmcnt 0x0
	v_mul_u64_e32 v[8:9], s[2:3], v[6:7]
	v_lshl_add_u64 v[6:7], v[6:7], 2, s[4:5]
	s_delay_alu instid0(VALU_DEP_2)
	v_lshl_add_u64 v[8:9], v[8:9], 2, s[4:5]
	v_cmpx_gt_i32_e64 s11, v2
	s_cbranch_execz .LBB5_41
; %bb.30:
	v_ashrrev_i32_e32 v3, 31, v2
	s_and_b32 vcc_lo, exec_lo, s7
	s_cbranch_vccz .LBB5_36
; %bb.31:
	s_and_b32 vcc_lo, exec_lo, s1
	s_mov_b32 s4, -1
	s_cbranch_vccz .LBB5_33
; %bb.32:
	v_lshl_add_u64 v[10:11], v[2:3], 2, v[8:9]
	v_mul_f32_e32 v12, s6, v4
	s_mov_b32 s4, 0
	global_load_b32 v1, v[10:11], off
	s_wait_loadcnt 0x0
	v_fmac_f32_e32 v12, s24, v1
	global_store_b32 v[10:11], v12, off
.LBB5_33:
	s_and_not1_b32 vcc_lo, exec_lo, s4
	s_cbranch_vccnz .LBB5_35
; %bb.34:
	s_wait_xcnt 0x0
	v_mul_u64_e32 v[10:11], s[2:3], v[2:3]
	v_mul_f32_e32 v12, s6, v4
	s_delay_alu instid0(VALU_DEP_2)
	v_lshl_add_u64 v[10:11], v[10:11], 2, v[6:7]
	global_load_b32 v1, v[10:11], off
	s_wait_loadcnt 0x0
	v_fmac_f32_e32 v12, s24, v1
	global_store_b32 v[10:11], v12, off
.LBB5_35:
	s_cbranch_execz .LBB5_37
	s_branch .LBB5_41
.LBB5_36:
.LBB5_37:
	v_mul_f32_e32 v1, s6, v4
	s_and_b32 vcc_lo, exec_lo, s1
	s_mov_b32 s4, -1
	s_cbranch_vccz .LBB5_39
; %bb.38:
	s_wait_xcnt 0x0
	v_lshl_add_u64 v[10:11], v[2:3], 2, v[8:9]
	s_mov_b32 s4, 0
	global_store_b32 v[10:11], v1, off
.LBB5_39:
	s_and_not1_b32 vcc_lo, exec_lo, s4
	s_cbranch_vccnz .LBB5_41
; %bb.40:
	v_mul_u64_e32 v[2:3], s[2:3], v[2:3]
	s_delay_alu instid0(VALU_DEP_1)
	v_lshl_add_u64 v[2:3], v[2:3], 2, v[6:7]
	global_store_b32 v[2:3], v1, off
.LBB5_41:
	s_wait_xcnt 0x0
	s_or_b32 exec_lo, exec_lo, s0
	v_cmp_gt_i32_e32 vcc_lo, s11, v0
	s_and_b32 exec_lo, exec_lo, vcc_lo
	s_cbranch_execz .LBB5_48
; %bb.42:
	v_cndmask_b32_e64 v2, 0, 1, s1
	v_ashrrev_i32_e32 v1, 31, v0
	s_and_not1_b32 vcc_lo, exec_lo, s7
	s_delay_alu instid0(VALU_DEP_2)
	v_cmp_ne_u32_e64 s0, 1, v2
	s_cbranch_vccnz .LBB5_49
; %bb.43:
	s_and_b32 vcc_lo, exec_lo, s0
	s_mov_b32 s0, -1
	s_cbranch_vccnz .LBB5_45
; %bb.44:
	v_lshl_add_u64 v[2:3], v[0:1], 2, v[8:9]
	v_mul_f32_e32 v10, s6, v5
	s_mov_b32 s0, 0
	global_load_b32 v4, v[2:3], off
	s_wait_loadcnt 0x0
	v_fmac_f32_e32 v10, s24, v4
	global_store_b32 v[2:3], v10, off
.LBB5_45:
	s_and_not1_b32 vcc_lo, exec_lo, s0
	s_cbranch_vccnz .LBB5_47
; %bb.46:
	s_wait_xcnt 0x0
	v_mul_u64_e32 v[2:3], s[2:3], v[0:1]
	v_mul_f32_e32 v10, s6, v5
	s_delay_alu instid0(VALU_DEP_2)
	v_lshl_add_u64 v[2:3], v[2:3], 2, v[6:7]
	global_load_b32 v4, v[2:3], off
	s_wait_loadcnt 0x0
	v_fmac_f32_e32 v10, s24, v4
	global_store_b32 v[2:3], v10, off
.LBB5_47:
	s_cbranch_execz .LBB5_50
.LBB5_48:
	s_endpgm
.LBB5_49:
.LBB5_50:
	s_wait_xcnt 0x0
	v_mul_f32_e32 v2, s6, v5
	s_and_not1_b32 vcc_lo, exec_lo, s1
	s_mov_b32 s0, -1
	s_cbranch_vccnz .LBB5_52
; %bb.51:
	v_lshl_add_u64 v[4:5], v[0:1], 2, v[8:9]
	s_mov_b32 s0, 0
	global_store_b32 v[4:5], v2, off
.LBB5_52:
	s_and_not1_b32 vcc_lo, exec_lo, s0
	s_cbranch_vccnz .LBB5_48
; %bb.53:
	v_mul_u64_e32 v[0:1], s[2:3], v[0:1]
	s_delay_alu instid0(VALU_DEP_1)
	v_lshl_add_u64 v[0:1], v[0:1], 2, v[6:7]
	global_store_b32 v[0:1], v2, off
	s_endpgm
	.section	.rodata,"a",@progbits
	.p2align	6, 0x0
	.amdhsa_kernel _ZN9rocsparseL31bsrmm_large_blockdim_kernel_extILj4ELj16ELj2EliffffEEvb20rocsparse_direction_T3_S2_llNS_24const_host_device_scalarIT7_EEPKT2_PKS2_PKT4_S2_PKT5_llS5_PT6_ll16rocsparse_order_21rocsparse_index_base_b
		.amdhsa_group_segment_fixed_size 576
		.amdhsa_private_segment_fixed_size 0
		.amdhsa_kernarg_size 140
		.amdhsa_user_sgpr_count 2
		.amdhsa_user_sgpr_dispatch_ptr 0
		.amdhsa_user_sgpr_queue_ptr 0
		.amdhsa_user_sgpr_kernarg_segment_ptr 1
		.amdhsa_user_sgpr_dispatch_id 0
		.amdhsa_user_sgpr_kernarg_preload_length 0
		.amdhsa_user_sgpr_kernarg_preload_offset 0
		.amdhsa_user_sgpr_private_segment_size 0
		.amdhsa_wavefront_size32 1
		.amdhsa_uses_dynamic_stack 0
		.amdhsa_enable_private_segment 0
		.amdhsa_system_sgpr_workgroup_id_x 1
		.amdhsa_system_sgpr_workgroup_id_y 1
		.amdhsa_system_sgpr_workgroup_id_z 0
		.amdhsa_system_sgpr_workgroup_info 0
		.amdhsa_system_vgpr_workitem_id 1
		.amdhsa_next_free_vgpr 26
		.amdhsa_next_free_sgpr 36
		.amdhsa_named_barrier_count 0
		.amdhsa_reserve_vcc 1
		.amdhsa_float_round_mode_32 0
		.amdhsa_float_round_mode_16_64 0
		.amdhsa_float_denorm_mode_32 3
		.amdhsa_float_denorm_mode_16_64 3
		.amdhsa_fp16_overflow 0
		.amdhsa_memory_ordered 1
		.amdhsa_forward_progress 1
		.amdhsa_inst_pref_size 14
		.amdhsa_round_robin_scheduling 0
		.amdhsa_exception_fp_ieee_invalid_op 0
		.amdhsa_exception_fp_denorm_src 0
		.amdhsa_exception_fp_ieee_div_zero 0
		.amdhsa_exception_fp_ieee_overflow 0
		.amdhsa_exception_fp_ieee_underflow 0
		.amdhsa_exception_fp_ieee_inexact 0
		.amdhsa_exception_int_div_zero 0
	.end_amdhsa_kernel
	.section	.text._ZN9rocsparseL31bsrmm_large_blockdim_kernel_extILj4ELj16ELj2EliffffEEvb20rocsparse_direction_T3_S2_llNS_24const_host_device_scalarIT7_EEPKT2_PKS2_PKT4_S2_PKT5_llS5_PT6_ll16rocsparse_order_21rocsparse_index_base_b,"axG",@progbits,_ZN9rocsparseL31bsrmm_large_blockdim_kernel_extILj4ELj16ELj2EliffffEEvb20rocsparse_direction_T3_S2_llNS_24const_host_device_scalarIT7_EEPKT2_PKS2_PKT4_S2_PKT5_llS5_PT6_ll16rocsparse_order_21rocsparse_index_base_b,comdat
.Lfunc_end5:
	.size	_ZN9rocsparseL31bsrmm_large_blockdim_kernel_extILj4ELj16ELj2EliffffEEvb20rocsparse_direction_T3_S2_llNS_24const_host_device_scalarIT7_EEPKT2_PKS2_PKT4_S2_PKT5_llS5_PT6_ll16rocsparse_order_21rocsparse_index_base_b, .Lfunc_end5-_ZN9rocsparseL31bsrmm_large_blockdim_kernel_extILj4ELj16ELj2EliffffEEvb20rocsparse_direction_T3_S2_llNS_24const_host_device_scalarIT7_EEPKT2_PKS2_PKT4_S2_PKT5_llS5_PT6_ll16rocsparse_order_21rocsparse_index_base_b
                                        ; -- End function
	.set _ZN9rocsparseL31bsrmm_large_blockdim_kernel_extILj4ELj16ELj2EliffffEEvb20rocsparse_direction_T3_S2_llNS_24const_host_device_scalarIT7_EEPKT2_PKS2_PKT4_S2_PKT5_llS5_PT6_ll16rocsparse_order_21rocsparse_index_base_b.num_vgpr, 26
	.set _ZN9rocsparseL31bsrmm_large_blockdim_kernel_extILj4ELj16ELj2EliffffEEvb20rocsparse_direction_T3_S2_llNS_24const_host_device_scalarIT7_EEPKT2_PKS2_PKT4_S2_PKT5_llS5_PT6_ll16rocsparse_order_21rocsparse_index_base_b.num_agpr, 0
	.set _ZN9rocsparseL31bsrmm_large_blockdim_kernel_extILj4ELj16ELj2EliffffEEvb20rocsparse_direction_T3_S2_llNS_24const_host_device_scalarIT7_EEPKT2_PKS2_PKT4_S2_PKT5_llS5_PT6_ll16rocsparse_order_21rocsparse_index_base_b.numbered_sgpr, 36
	.set _ZN9rocsparseL31bsrmm_large_blockdim_kernel_extILj4ELj16ELj2EliffffEEvb20rocsparse_direction_T3_S2_llNS_24const_host_device_scalarIT7_EEPKT2_PKS2_PKT4_S2_PKT5_llS5_PT6_ll16rocsparse_order_21rocsparse_index_base_b.num_named_barrier, 0
	.set _ZN9rocsparseL31bsrmm_large_blockdim_kernel_extILj4ELj16ELj2EliffffEEvb20rocsparse_direction_T3_S2_llNS_24const_host_device_scalarIT7_EEPKT2_PKS2_PKT4_S2_PKT5_llS5_PT6_ll16rocsparse_order_21rocsparse_index_base_b.private_seg_size, 0
	.set _ZN9rocsparseL31bsrmm_large_blockdim_kernel_extILj4ELj16ELj2EliffffEEvb20rocsparse_direction_T3_S2_llNS_24const_host_device_scalarIT7_EEPKT2_PKS2_PKT4_S2_PKT5_llS5_PT6_ll16rocsparse_order_21rocsparse_index_base_b.uses_vcc, 1
	.set _ZN9rocsparseL31bsrmm_large_blockdim_kernel_extILj4ELj16ELj2EliffffEEvb20rocsparse_direction_T3_S2_llNS_24const_host_device_scalarIT7_EEPKT2_PKS2_PKT4_S2_PKT5_llS5_PT6_ll16rocsparse_order_21rocsparse_index_base_b.uses_flat_scratch, 0
	.set _ZN9rocsparseL31bsrmm_large_blockdim_kernel_extILj4ELj16ELj2EliffffEEvb20rocsparse_direction_T3_S2_llNS_24const_host_device_scalarIT7_EEPKT2_PKS2_PKT4_S2_PKT5_llS5_PT6_ll16rocsparse_order_21rocsparse_index_base_b.has_dyn_sized_stack, 0
	.set _ZN9rocsparseL31bsrmm_large_blockdim_kernel_extILj4ELj16ELj2EliffffEEvb20rocsparse_direction_T3_S2_llNS_24const_host_device_scalarIT7_EEPKT2_PKS2_PKT4_S2_PKT5_llS5_PT6_ll16rocsparse_order_21rocsparse_index_base_b.has_recursion, 0
	.set _ZN9rocsparseL31bsrmm_large_blockdim_kernel_extILj4ELj16ELj2EliffffEEvb20rocsparse_direction_T3_S2_llNS_24const_host_device_scalarIT7_EEPKT2_PKS2_PKT4_S2_PKT5_llS5_PT6_ll16rocsparse_order_21rocsparse_index_base_b.has_indirect_call, 0
	.section	.AMDGPU.csdata,"",@progbits
; Kernel info:
; codeLenInByte = 1712
; TotalNumSgprs: 38
; NumVgprs: 26
; ScratchSize: 0
; MemoryBound: 0
; FloatMode: 240
; IeeeMode: 1
; LDSByteSize: 576 bytes/workgroup (compile time only)
; SGPRBlocks: 0
; VGPRBlocks: 1
; NumSGPRsForWavesPerEU: 38
; NumVGPRsForWavesPerEU: 26
; NamedBarCnt: 0
; Occupancy: 16
; WaveLimiterHint : 1
; COMPUTE_PGM_RSRC2:SCRATCH_EN: 0
; COMPUTE_PGM_RSRC2:USER_SGPR: 2
; COMPUTE_PGM_RSRC2:TRAP_HANDLER: 0
; COMPUTE_PGM_RSRC2:TGID_X_EN: 1
; COMPUTE_PGM_RSRC2:TGID_Y_EN: 1
; COMPUTE_PGM_RSRC2:TGID_Z_EN: 0
; COMPUTE_PGM_RSRC2:TIDIG_COMP_CNT: 1
	.section	.text._ZN9rocsparseL31bsrmm_large_blockdim_kernel_extILj16ELj16ELj2EliffffEEvb20rocsparse_direction_T3_S2_llNS_24const_host_device_scalarIT7_EEPKT2_PKS2_PKT4_S2_PKT5_llS5_PT6_ll16rocsparse_order_21rocsparse_index_base_b,"axG",@progbits,_ZN9rocsparseL31bsrmm_large_blockdim_kernel_extILj16ELj16ELj2EliffffEEvb20rocsparse_direction_T3_S2_llNS_24const_host_device_scalarIT7_EEPKT2_PKS2_PKT4_S2_PKT5_llS5_PT6_ll16rocsparse_order_21rocsparse_index_base_b,comdat
	.globl	_ZN9rocsparseL31bsrmm_large_blockdim_kernel_extILj16ELj16ELj2EliffffEEvb20rocsparse_direction_T3_S2_llNS_24const_host_device_scalarIT7_EEPKT2_PKS2_PKT4_S2_PKT5_llS5_PT6_ll16rocsparse_order_21rocsparse_index_base_b ; -- Begin function _ZN9rocsparseL31bsrmm_large_blockdim_kernel_extILj16ELj16ELj2EliffffEEvb20rocsparse_direction_T3_S2_llNS_24const_host_device_scalarIT7_EEPKT2_PKS2_PKT4_S2_PKT5_llS5_PT6_ll16rocsparse_order_21rocsparse_index_base_b
	.p2align	8
	.type	_ZN9rocsparseL31bsrmm_large_blockdim_kernel_extILj16ELj16ELj2EliffffEEvb20rocsparse_direction_T3_S2_llNS_24const_host_device_scalarIT7_EEPKT2_PKS2_PKT4_S2_PKT5_llS5_PT6_ll16rocsparse_order_21rocsparse_index_base_b,@function
_ZN9rocsparseL31bsrmm_large_blockdim_kernel_extILj16ELj16ELj2EliffffEEvb20rocsparse_direction_T3_S2_llNS_24const_host_device_scalarIT7_EEPKT2_PKS2_PKT4_S2_PKT5_llS5_PT6_ll16rocsparse_order_21rocsparse_index_base_b: ; @_ZN9rocsparseL31bsrmm_large_blockdim_kernel_extILj16ELj16ELj2EliffffEEvb20rocsparse_direction_T3_S2_llNS_24const_host_device_scalarIT7_EEPKT2_PKS2_PKT4_S2_PKT5_llS5_PT6_ll16rocsparse_order_21rocsparse_index_base_b
; %bb.0:
	s_clause 0x2
	s_load_b96 s[20:22], s[0:1], 0x80
	s_load_b64 s[6:7], s[0:1], 0x20
	s_load_b64 s[24:25], s[0:1], 0x60
	s_wait_kmcnt 0x0
	s_bitcmp1_b32 s22, 0
	s_cselect_b32 s2, -1, 0
	s_delay_alu instid0(SALU_CYCLE_1)
	s_and_b32 vcc_lo, exec_lo, s2
	s_xor_b32 s2, s2, -1
	s_cbranch_vccnz .LBB6_2
; %bb.1:
	s_load_b32 s6, s[6:7], 0x0
.LBB6_2:
	s_and_not1_b32 vcc_lo, exec_lo, s2
	s_cbranch_vccnz .LBB6_4
; %bb.3:
	s_load_b32 s24, s[24:25], 0x0
.LBB6_4:
	s_wait_kmcnt 0x0
	s_cmp_eq_f32 s6, 0
	s_cselect_b32 s2, -1, 0
	s_cmp_eq_f32 s24, 1.0
	s_cselect_b32 s3, -1, 0
	s_delay_alu instid0(SALU_CYCLE_1) | instskip(NEXT) | instid1(SALU_CYCLE_1)
	s_and_b32 s2, s2, s3
	s_and_b32 vcc_lo, exec_lo, s2
	s_cbranch_vccnz .LBB6_48
; %bb.5:
	s_clause 0x1
	s_load_b128 s[8:11], s[0:1], 0x0
	s_load_b64 s[2:3], s[0:1], 0x28
	s_bfe_u32 s4, ttmp6, 0x4000c
	s_and_b32 s5, ttmp6, 15
	s_add_co_i32 s4, s4, 1
	s_mov_b64 s[26:27], 0
	s_mul_i32 s7, ttmp9, s4
	s_getreg_b32 s4, hwreg(HW_REG_IB_STS2, 6, 4)
	s_add_co_i32 s5, s5, s7
	s_cmp_eq_u32 s4, 0
	s_mov_b64 s[28:29], 0
	s_cselect_b32 s22, ttmp9, s5
	s_wait_kmcnt 0x0
	s_cmp_lt_i32 s22, s10
	s_cselect_b32 s7, -1, 0
	s_cmp_ge_i32 s22, s10
	s_cbranch_scc1 .LBB6_7
; %bb.6:
	s_ashr_i32 s23, s22, 31
	s_mov_b32 s15, 0
	s_lshl_b64 s[12:13], s[22:23], 3
	s_mov_b32 s14, s21
	s_add_nc_u64 s[12:13], s[2:3], s[12:13]
	s_load_b64 s[12:13], s[12:13], 0x0
	s_wait_kmcnt 0x0
	s_sub_nc_u64 s[28:29], s[12:13], s[14:15]
.LBB6_7:
	s_and_not1_b32 vcc_lo, exec_lo, s7
	s_cbranch_vccnz .LBB6_9
; %bb.8:
	s_ashr_i32 s23, s22, 31
	s_delay_alu instid0(SALU_CYCLE_1) | instskip(NEXT) | instid1(SALU_CYCLE_1)
	s_lshl_b64 s[12:13], s[22:23], 3
	s_add_nc_u64 s[2:3], s[2:3], s[12:13]
	s_mov_b32 s13, 0
	s_load_b64 s[2:3], s[2:3], 0x8
	s_mov_b32 s12, s21
	s_wait_kmcnt 0x0
	s_sub_nc_u64 s[26:27], s[2:3], s[12:13]
.LBB6_9:
	s_bfe_u32 s2, ttmp6, 0x40010
	s_load_b32 s10, s[0:1], 0x40
	s_add_co_i32 s2, s2, 1
	s_bfe_u32 s3, ttmp6, 0x40004
	s_mul_i32 s2, ttmp7, s2
	v_bfe_u32 v4, v0, 10, 10
	s_add_co_i32 s3, s3, s2
	s_cmp_eq_u32 s4, 0
	v_and_b32_e32 v16, 0x3ff, v0
	s_cselect_b32 s2, ttmp7, s3
	s_mov_b32 s31, 0
	v_lshl_add_u32 v2, s2, 5, v4
	v_cmp_ge_i64_e64 s2, s[28:29], s[26:27]
	s_delay_alu instid0(VALU_DEP_2)
	v_add_nc_u32_e32 v0, 16, v2
	v_cmp_gt_i32_e64 s3, s11, v2
	s_and_b32 vcc_lo, exec_lo, s2
	s_wait_kmcnt 0x0
	v_cmp_gt_i32_e64 s2, s10, v16
	v_cmp_gt_i32_e64 s4, s11, v0
	s_cbranch_vccnz .LBB6_27
; %bb.10:
	s_clause 0x1
	s_load_b128 s[12:15], s[0:1], 0x30
	s_load_b128 s[16:19], s[0:1], 0x48
	v_mul_lo_u32 v10, s10, v4
	v_dual_mov_b32 v11, 0 :: v_dual_ashrrev_i32 v3, 31, v2
	v_ashrrev_i32_e32 v1, 31, v0
	v_cmp_gt_i32_e32 vcc_lo, s10, v4
	s_delay_alu instid0(VALU_DEP_3)
	v_dual_mov_b32 v15, v11 :: v_dual_lshlrev_b32 v14, 2, v4
	v_dual_mov_b32 v21, v11 :: v_dual_lshlrev_b32 v20, 2, v16
	s_mul_i32 s30, s10, s10
	s_wait_kmcnt 0x0
	v_lshl_add_u64 v[12:13], v[10:11], 2, s[14:15]
	v_mul_u64_e32 v[6:7], s[18:19], v[2:3]
	v_mul_u64_e32 v[8:9], s[18:19], v[0:1]
	v_mul_lo_u32 v10, s10, v16
	s_delay_alu instid0(VALU_DEP_1)
	v_lshl_add_u64 v[10:11], v[10:11], 2, s[14:15]
	s_and_b32 s14, s2, vcc_lo
	s_bitcmp1_b32 s8, 0
	s_cselect_b32 s5, -1, 0
	s_cmp_eq_u32 s9, 0
	v_add_nc_u64_e32 v[10:11], v[10:11], v[14:15]
	s_cselect_b32 vcc_lo, -1, 0
	v_lshlrev_b32_e32 v17, 6, v4
	v_add_nc_u64_e32 v[4:5], v[12:13], v[20:21]
	v_lshlrev_b32_e32 v12, 6, v16
	v_add_nc_u32_e32 v13, 0x800, v14
	s_delay_alu instid0(VALU_DEP_2) | instskip(NEXT) | instid1(VALU_DEP_4)
	v_dual_cndmask_b32 v11, v5, v11 :: v_dual_add_nc_u32 v18, 0x800, v12
	v_dual_cndmask_b32 v10, v4, v10 :: v_dual_add_nc_u32 v19, 0x400, v17
	v_mov_b64_e32 v[4:5], 0
	s_delay_alu instid0(VALU_DEP_4)
	v_dual_add_nc_u32 v20, v20, v17 :: v_dual_add_nc_u32 v21, v13, v12
	s_branch .LBB6_13
.LBB6_11:                               ;   in Loop: Header=BB6_13 Depth=1
	s_or_b32 exec_lo, exec_lo, s9
.LBB6_12:                               ;   in Loop: Header=BB6_13 Depth=1
	s_delay_alu instid0(SALU_CYCLE_1) | instskip(SKIP_1) | instid1(SALU_CYCLE_1)
	s_or_b32 exec_lo, exec_lo, s8
	s_add_nc_u64 s[28:29], s[28:29], 1
	v_cmp_ge_i64_e64 s8, s[28:29], s[26:27]
	s_barrier_signal -1
	s_barrier_wait -1
	s_and_b32 vcc_lo, exec_lo, s8
	s_cbranch_vccnz .LBB6_28
.LBB6_13:                               ; =>This Loop Header: Depth=1
                                        ;     Child Loop BB6_23 Depth 2
                                        ;     Child Loop BB6_26 Depth 2
	s_and_saveexec_b32 s8, s2
	s_cbranch_execz .LBB6_18
; %bb.14:                               ;   in Loop: Header=BB6_13 Depth=1
	s_lshl_b64 s[34:35], s[28:29], 2
	s_delay_alu instid0(SALU_CYCLE_1) | instskip(SKIP_3) | instid1(SALU_CYCLE_1)
	s_add_nc_u64 s[34:35], s[12:13], s[34:35]
	s_load_b32 s9, s[34:35], 0x0
	s_wait_kmcnt 0x0
	s_sub_co_i32 s9, s9, s21
	v_mad_u32 v14, s9, s10, v16
	s_delay_alu instid0(VALU_DEP_1) | instskip(NEXT) | instid1(VALU_DEP_1)
	v_ashrrev_i32_e32 v15, 31, v14
	v_mul_u64_e32 v[12:13], s[18:19], v[14:15]
	v_lshl_add_u64 v[14:15], v[14:15], 2, s[16:17]
	s_delay_alu instid0(VALU_DEP_2)
	v_lshl_add_u64 v[12:13], v[12:13], 2, s[16:17]
	s_and_saveexec_b32 s9, s3
	s_cbranch_execz .LBB6_16
; %bb.15:                               ;   in Loop: Header=BB6_13 Depth=1
	s_delay_alu instid0(VALU_DEP_1) | instskip(SKIP_1) | instid1(VALU_DEP_1)
	v_lshl_add_u64 v[22:23], v[2:3], 2, v[12:13]
	v_lshl_add_u64 v[24:25], v[6:7], 2, v[14:15]
	v_dual_cndmask_b32 v23, v23, v25, s5 :: v_dual_cndmask_b32 v22, v22, v24, s5
	global_load_b32 v22, v[22:23], off
	s_wait_loadcnt 0x0
	ds_store_b32 v20, v22
.LBB6_16:                               ;   in Loop: Header=BB6_13 Depth=1
	s_or_b32 exec_lo, exec_lo, s9
	s_delay_alu instid0(SALU_CYCLE_1)
	s_and_b32 exec_lo, exec_lo, s4
	s_cbranch_execz .LBB6_18
; %bb.17:                               ;   in Loop: Header=BB6_13 Depth=1
	v_lshl_add_u64 v[14:15], v[8:9], 2, v[14:15]
	v_lshl_add_u64 v[12:13], v[0:1], 2, v[12:13]
	s_delay_alu instid0(VALU_DEP_1)
	v_dual_cndmask_b32 v13, v13, v15, s5 :: v_dual_cndmask_b32 v12, v12, v14, s5
	global_load_b32 v12, v[12:13], off
	s_wait_loadcnt 0x0
	ds_store_b32 v20, v12 offset:1024
.LBB6_18:                               ;   in Loop: Header=BB6_13 Depth=1
	s_or_b32 exec_lo, exec_lo, s8
	s_and_saveexec_b32 s8, s14
	s_cbranch_execz .LBB6_20
; %bb.19:                               ;   in Loop: Header=BB6_13 Depth=1
	s_mul_u64 s[34:35], s[28:29], s[30:31]
	s_delay_alu instid0(SALU_CYCLE_1)
	v_lshl_add_u64 v[12:13], s[34:35], 2, v[10:11]
	global_load_b32 v12, v[12:13], off
	s_wait_loadcnt 0x0
	ds_store_b32 v21, v12
.LBB6_20:                               ;   in Loop: Header=BB6_13 Depth=1
	s_or_b32 exec_lo, exec_lo, s8
	s_wait_dscnt 0x0
	s_barrier_signal -1
	s_barrier_wait -1
	s_and_saveexec_b32 s8, s2
	s_cbranch_execz .LBB6_12
; %bb.21:                               ;   in Loop: Header=BB6_13 Depth=1
	s_and_saveexec_b32 s9, s3
	s_cbranch_execz .LBB6_24
; %bb.22:                               ;   in Loop: Header=BB6_13 Depth=1
	v_dual_mov_b32 v12, v18 :: v_dual_mov_b32 v13, v17
	s_mov_b32 s15, s10
.LBB6_23:                               ;   Parent Loop BB6_13 Depth=1
                                        ; =>  This Inner Loop Header: Depth=2
	ds_load_b32 v14, v12
	ds_load_b32 v15, v13
	v_dual_add_nc_u32 v13, 4, v13 :: v_dual_add_nc_u32 v12, 4, v12
	s_add_co_i32 s15, s15, -1
	s_delay_alu instid0(SALU_CYCLE_1)
	s_cmp_lg_u32 s15, 0
	s_wait_dscnt 0x0
	v_fma_f32 v4, v14, v15, v4
	s_cbranch_scc1 .LBB6_23
.LBB6_24:                               ;   in Loop: Header=BB6_13 Depth=1
	s_or_b32 exec_lo, exec_lo, s9
	s_and_saveexec_b32 s9, s4
	s_cbranch_execz .LBB6_11
; %bb.25:                               ;   in Loop: Header=BB6_13 Depth=1
	v_dual_mov_b32 v12, v18 :: v_dual_mov_b32 v13, v19
	s_mov_b32 s15, s10
.LBB6_26:                               ;   Parent Loop BB6_13 Depth=1
                                        ; =>  This Inner Loop Header: Depth=2
	ds_load_b32 v14, v12
	ds_load_b32 v15, v13
	v_dual_add_nc_u32 v13, 4, v13 :: v_dual_add_nc_u32 v12, 4, v12
	s_add_co_i32 s15, s15, -1
	s_delay_alu instid0(SALU_CYCLE_1)
	s_cmp_lg_u32 s15, 0
	s_wait_dscnt 0x0
	v_fma_f32 v5, v14, v15, v5
	s_cbranch_scc1 .LBB6_26
	s_branch .LBB6_11
.LBB6_27:
	v_mov_b64_e32 v[4:5], 0
.LBB6_28:
	s_load_b64 s[4:5], s[0:1], 0x68
	s_and_b32 s2, s7, s2
	s_delay_alu instid0(SALU_CYCLE_1)
	s_and_saveexec_b32 s3, s2
	s_cbranch_execz .LBB6_48
; %bb.29:
	s_load_b64 s[2:3], s[0:1], 0x70
	v_mad_u32 v6, s10, s22, v16
	s_cmp_neq_f32 s24, 0
	s_wait_xcnt 0x0
	s_mov_b32 s0, exec_lo
	s_cselect_b32 s7, -1, 0
	s_cmp_lg_u32 s20, 1
	s_cselect_b32 s1, -1, 0
	s_delay_alu instid0(VALU_DEP_1) | instskip(SKIP_1) | instid1(VALU_DEP_1)
	v_ashrrev_i32_e32 v7, 31, v6
	s_wait_kmcnt 0x0
	v_mul_u64_e32 v[8:9], s[2:3], v[6:7]
	v_lshl_add_u64 v[6:7], v[6:7], 2, s[4:5]
	s_delay_alu instid0(VALU_DEP_2)
	v_lshl_add_u64 v[8:9], v[8:9], 2, s[4:5]
	v_cmpx_gt_i32_e64 s11, v2
	s_cbranch_execz .LBB6_41
; %bb.30:
	v_ashrrev_i32_e32 v3, 31, v2
	s_and_b32 vcc_lo, exec_lo, s7
	s_cbranch_vccz .LBB6_36
; %bb.31:
	s_and_b32 vcc_lo, exec_lo, s1
	s_mov_b32 s4, -1
	s_cbranch_vccz .LBB6_33
; %bb.32:
	v_lshl_add_u64 v[10:11], v[2:3], 2, v[8:9]
	v_mul_f32_e32 v12, s6, v4
	s_mov_b32 s4, 0
	global_load_b32 v1, v[10:11], off
	s_wait_loadcnt 0x0
	v_fmac_f32_e32 v12, s24, v1
	global_store_b32 v[10:11], v12, off
.LBB6_33:
	s_and_not1_b32 vcc_lo, exec_lo, s4
	s_cbranch_vccnz .LBB6_35
; %bb.34:
	s_wait_xcnt 0x0
	v_mul_u64_e32 v[10:11], s[2:3], v[2:3]
	v_mul_f32_e32 v12, s6, v4
	s_delay_alu instid0(VALU_DEP_2)
	v_lshl_add_u64 v[10:11], v[10:11], 2, v[6:7]
	global_load_b32 v1, v[10:11], off
	s_wait_loadcnt 0x0
	v_fmac_f32_e32 v12, s24, v1
	global_store_b32 v[10:11], v12, off
.LBB6_35:
	s_cbranch_execz .LBB6_37
	s_branch .LBB6_41
.LBB6_36:
.LBB6_37:
	v_mul_f32_e32 v1, s6, v4
	s_and_b32 vcc_lo, exec_lo, s1
	s_mov_b32 s4, -1
	s_cbranch_vccz .LBB6_39
; %bb.38:
	s_wait_xcnt 0x0
	v_lshl_add_u64 v[10:11], v[2:3], 2, v[8:9]
	s_mov_b32 s4, 0
	global_store_b32 v[10:11], v1, off
.LBB6_39:
	s_and_not1_b32 vcc_lo, exec_lo, s4
	s_cbranch_vccnz .LBB6_41
; %bb.40:
	v_mul_u64_e32 v[2:3], s[2:3], v[2:3]
	s_delay_alu instid0(VALU_DEP_1)
	v_lshl_add_u64 v[2:3], v[2:3], 2, v[6:7]
	global_store_b32 v[2:3], v1, off
.LBB6_41:
	s_wait_xcnt 0x0
	s_or_b32 exec_lo, exec_lo, s0
	v_cmp_gt_i32_e32 vcc_lo, s11, v0
	s_and_b32 exec_lo, exec_lo, vcc_lo
	s_cbranch_execz .LBB6_48
; %bb.42:
	v_cndmask_b32_e64 v2, 0, 1, s1
	v_ashrrev_i32_e32 v1, 31, v0
	s_and_not1_b32 vcc_lo, exec_lo, s7
	s_delay_alu instid0(VALU_DEP_2)
	v_cmp_ne_u32_e64 s0, 1, v2
	s_cbranch_vccnz .LBB6_49
; %bb.43:
	s_and_b32 vcc_lo, exec_lo, s0
	s_mov_b32 s0, -1
	s_cbranch_vccnz .LBB6_45
; %bb.44:
	v_lshl_add_u64 v[2:3], v[0:1], 2, v[8:9]
	v_mul_f32_e32 v10, s6, v5
	s_mov_b32 s0, 0
	global_load_b32 v4, v[2:3], off
	s_wait_loadcnt 0x0
	v_fmac_f32_e32 v10, s24, v4
	global_store_b32 v[2:3], v10, off
.LBB6_45:
	s_and_not1_b32 vcc_lo, exec_lo, s0
	s_cbranch_vccnz .LBB6_47
; %bb.46:
	s_wait_xcnt 0x0
	v_mul_u64_e32 v[2:3], s[2:3], v[0:1]
	v_mul_f32_e32 v10, s6, v5
	s_delay_alu instid0(VALU_DEP_2)
	v_lshl_add_u64 v[2:3], v[2:3], 2, v[6:7]
	global_load_b32 v4, v[2:3], off
	s_wait_loadcnt 0x0
	v_fmac_f32_e32 v10, s24, v4
	global_store_b32 v[2:3], v10, off
.LBB6_47:
	s_cbranch_execz .LBB6_50
.LBB6_48:
	s_endpgm
.LBB6_49:
.LBB6_50:
	s_wait_xcnt 0x0
	v_mul_f32_e32 v2, s6, v5
	s_and_not1_b32 vcc_lo, exec_lo, s1
	s_mov_b32 s0, -1
	s_cbranch_vccnz .LBB6_52
; %bb.51:
	v_lshl_add_u64 v[4:5], v[0:1], 2, v[8:9]
	s_mov_b32 s0, 0
	global_store_b32 v[4:5], v2, off
.LBB6_52:
	s_and_not1_b32 vcc_lo, exec_lo, s0
	s_cbranch_vccnz .LBB6_48
; %bb.53:
	v_mul_u64_e32 v[0:1], s[2:3], v[0:1]
	s_delay_alu instid0(VALU_DEP_1)
	v_lshl_add_u64 v[0:1], v[0:1], 2, v[6:7]
	global_store_b32 v[0:1], v2, off
	s_endpgm
	.section	.rodata,"a",@progbits
	.p2align	6, 0x0
	.amdhsa_kernel _ZN9rocsparseL31bsrmm_large_blockdim_kernel_extILj16ELj16ELj2EliffffEEvb20rocsparse_direction_T3_S2_llNS_24const_host_device_scalarIT7_EEPKT2_PKS2_PKT4_S2_PKT5_llS5_PT6_ll16rocsparse_order_21rocsparse_index_base_b
		.amdhsa_group_segment_fixed_size 3072
		.amdhsa_private_segment_fixed_size 0
		.amdhsa_kernarg_size 140
		.amdhsa_user_sgpr_count 2
		.amdhsa_user_sgpr_dispatch_ptr 0
		.amdhsa_user_sgpr_queue_ptr 0
		.amdhsa_user_sgpr_kernarg_segment_ptr 1
		.amdhsa_user_sgpr_dispatch_id 0
		.amdhsa_user_sgpr_kernarg_preload_length 0
		.amdhsa_user_sgpr_kernarg_preload_offset 0
		.amdhsa_user_sgpr_private_segment_size 0
		.amdhsa_wavefront_size32 1
		.amdhsa_uses_dynamic_stack 0
		.amdhsa_enable_private_segment 0
		.amdhsa_system_sgpr_workgroup_id_x 1
		.amdhsa_system_sgpr_workgroup_id_y 1
		.amdhsa_system_sgpr_workgroup_id_z 0
		.amdhsa_system_sgpr_workgroup_info 0
		.amdhsa_system_vgpr_workitem_id 1
		.amdhsa_next_free_vgpr 26
		.amdhsa_next_free_sgpr 36
		.amdhsa_named_barrier_count 0
		.amdhsa_reserve_vcc 1
		.amdhsa_float_round_mode_32 0
		.amdhsa_float_round_mode_16_64 0
		.amdhsa_float_denorm_mode_32 3
		.amdhsa_float_denorm_mode_16_64 3
		.amdhsa_fp16_overflow 0
		.amdhsa_memory_ordered 1
		.amdhsa_forward_progress 1
		.amdhsa_inst_pref_size 14
		.amdhsa_round_robin_scheduling 0
		.amdhsa_exception_fp_ieee_invalid_op 0
		.amdhsa_exception_fp_denorm_src 0
		.amdhsa_exception_fp_ieee_div_zero 0
		.amdhsa_exception_fp_ieee_overflow 0
		.amdhsa_exception_fp_ieee_underflow 0
		.amdhsa_exception_fp_ieee_inexact 0
		.amdhsa_exception_int_div_zero 0
	.end_amdhsa_kernel
	.section	.text._ZN9rocsparseL31bsrmm_large_blockdim_kernel_extILj16ELj16ELj2EliffffEEvb20rocsparse_direction_T3_S2_llNS_24const_host_device_scalarIT7_EEPKT2_PKS2_PKT4_S2_PKT5_llS5_PT6_ll16rocsparse_order_21rocsparse_index_base_b,"axG",@progbits,_ZN9rocsparseL31bsrmm_large_blockdim_kernel_extILj16ELj16ELj2EliffffEEvb20rocsparse_direction_T3_S2_llNS_24const_host_device_scalarIT7_EEPKT2_PKS2_PKT4_S2_PKT5_llS5_PT6_ll16rocsparse_order_21rocsparse_index_base_b,comdat
.Lfunc_end6:
	.size	_ZN9rocsparseL31bsrmm_large_blockdim_kernel_extILj16ELj16ELj2EliffffEEvb20rocsparse_direction_T3_S2_llNS_24const_host_device_scalarIT7_EEPKT2_PKS2_PKT4_S2_PKT5_llS5_PT6_ll16rocsparse_order_21rocsparse_index_base_b, .Lfunc_end6-_ZN9rocsparseL31bsrmm_large_blockdim_kernel_extILj16ELj16ELj2EliffffEEvb20rocsparse_direction_T3_S2_llNS_24const_host_device_scalarIT7_EEPKT2_PKS2_PKT4_S2_PKT5_llS5_PT6_ll16rocsparse_order_21rocsparse_index_base_b
                                        ; -- End function
	.set _ZN9rocsparseL31bsrmm_large_blockdim_kernel_extILj16ELj16ELj2EliffffEEvb20rocsparse_direction_T3_S2_llNS_24const_host_device_scalarIT7_EEPKT2_PKS2_PKT4_S2_PKT5_llS5_PT6_ll16rocsparse_order_21rocsparse_index_base_b.num_vgpr, 26
	.set _ZN9rocsparseL31bsrmm_large_blockdim_kernel_extILj16ELj16ELj2EliffffEEvb20rocsparse_direction_T3_S2_llNS_24const_host_device_scalarIT7_EEPKT2_PKS2_PKT4_S2_PKT5_llS5_PT6_ll16rocsparse_order_21rocsparse_index_base_b.num_agpr, 0
	.set _ZN9rocsparseL31bsrmm_large_blockdim_kernel_extILj16ELj16ELj2EliffffEEvb20rocsparse_direction_T3_S2_llNS_24const_host_device_scalarIT7_EEPKT2_PKS2_PKT4_S2_PKT5_llS5_PT6_ll16rocsparse_order_21rocsparse_index_base_b.numbered_sgpr, 36
	.set _ZN9rocsparseL31bsrmm_large_blockdim_kernel_extILj16ELj16ELj2EliffffEEvb20rocsparse_direction_T3_S2_llNS_24const_host_device_scalarIT7_EEPKT2_PKS2_PKT4_S2_PKT5_llS5_PT6_ll16rocsparse_order_21rocsparse_index_base_b.num_named_barrier, 0
	.set _ZN9rocsparseL31bsrmm_large_blockdim_kernel_extILj16ELj16ELj2EliffffEEvb20rocsparse_direction_T3_S2_llNS_24const_host_device_scalarIT7_EEPKT2_PKS2_PKT4_S2_PKT5_llS5_PT6_ll16rocsparse_order_21rocsparse_index_base_b.private_seg_size, 0
	.set _ZN9rocsparseL31bsrmm_large_blockdim_kernel_extILj16ELj16ELj2EliffffEEvb20rocsparse_direction_T3_S2_llNS_24const_host_device_scalarIT7_EEPKT2_PKS2_PKT4_S2_PKT5_llS5_PT6_ll16rocsparse_order_21rocsparse_index_base_b.uses_vcc, 1
	.set _ZN9rocsparseL31bsrmm_large_blockdim_kernel_extILj16ELj16ELj2EliffffEEvb20rocsparse_direction_T3_S2_llNS_24const_host_device_scalarIT7_EEPKT2_PKS2_PKT4_S2_PKT5_llS5_PT6_ll16rocsparse_order_21rocsparse_index_base_b.uses_flat_scratch, 0
	.set _ZN9rocsparseL31bsrmm_large_blockdim_kernel_extILj16ELj16ELj2EliffffEEvb20rocsparse_direction_T3_S2_llNS_24const_host_device_scalarIT7_EEPKT2_PKS2_PKT4_S2_PKT5_llS5_PT6_ll16rocsparse_order_21rocsparse_index_base_b.has_dyn_sized_stack, 0
	.set _ZN9rocsparseL31bsrmm_large_blockdim_kernel_extILj16ELj16ELj2EliffffEEvb20rocsparse_direction_T3_S2_llNS_24const_host_device_scalarIT7_EEPKT2_PKS2_PKT4_S2_PKT5_llS5_PT6_ll16rocsparse_order_21rocsparse_index_base_b.has_recursion, 0
	.set _ZN9rocsparseL31bsrmm_large_blockdim_kernel_extILj16ELj16ELj2EliffffEEvb20rocsparse_direction_T3_S2_llNS_24const_host_device_scalarIT7_EEPKT2_PKS2_PKT4_S2_PKT5_llS5_PT6_ll16rocsparse_order_21rocsparse_index_base_b.has_indirect_call, 0
	.section	.AMDGPU.csdata,"",@progbits
; Kernel info:
; codeLenInByte = 1712
; TotalNumSgprs: 38
; NumVgprs: 26
; ScratchSize: 0
; MemoryBound: 0
; FloatMode: 240
; IeeeMode: 1
; LDSByteSize: 3072 bytes/workgroup (compile time only)
; SGPRBlocks: 0
; VGPRBlocks: 1
; NumSGPRsForWavesPerEU: 38
; NumVGPRsForWavesPerEU: 26
; NamedBarCnt: 0
; Occupancy: 16
; WaveLimiterHint : 1
; COMPUTE_PGM_RSRC2:SCRATCH_EN: 0
; COMPUTE_PGM_RSRC2:USER_SGPR: 2
; COMPUTE_PGM_RSRC2:TRAP_HANDLER: 0
; COMPUTE_PGM_RSRC2:TGID_X_EN: 1
; COMPUTE_PGM_RSRC2:TGID_Y_EN: 1
; COMPUTE_PGM_RSRC2:TGID_Z_EN: 0
; COMPUTE_PGM_RSRC2:TIDIG_COMP_CNT: 1
	.section	.text._ZN9rocsparseL31bsrmm_large_blockdim_kernel_extILj32ELj32ELj2EliffffEEvb20rocsparse_direction_T3_S2_llNS_24const_host_device_scalarIT7_EEPKT2_PKS2_PKT4_S2_PKT5_llS5_PT6_ll16rocsparse_order_21rocsparse_index_base_b,"axG",@progbits,_ZN9rocsparseL31bsrmm_large_blockdim_kernel_extILj32ELj32ELj2EliffffEEvb20rocsparse_direction_T3_S2_llNS_24const_host_device_scalarIT7_EEPKT2_PKS2_PKT4_S2_PKT5_llS5_PT6_ll16rocsparse_order_21rocsparse_index_base_b,comdat
	.globl	_ZN9rocsparseL31bsrmm_large_blockdim_kernel_extILj32ELj32ELj2EliffffEEvb20rocsparse_direction_T3_S2_llNS_24const_host_device_scalarIT7_EEPKT2_PKS2_PKT4_S2_PKT5_llS5_PT6_ll16rocsparse_order_21rocsparse_index_base_b ; -- Begin function _ZN9rocsparseL31bsrmm_large_blockdim_kernel_extILj32ELj32ELj2EliffffEEvb20rocsparse_direction_T3_S2_llNS_24const_host_device_scalarIT7_EEPKT2_PKS2_PKT4_S2_PKT5_llS5_PT6_ll16rocsparse_order_21rocsparse_index_base_b
	.p2align	8
	.type	_ZN9rocsparseL31bsrmm_large_blockdim_kernel_extILj32ELj32ELj2EliffffEEvb20rocsparse_direction_T3_S2_llNS_24const_host_device_scalarIT7_EEPKT2_PKS2_PKT4_S2_PKT5_llS5_PT6_ll16rocsparse_order_21rocsparse_index_base_b,@function
_ZN9rocsparseL31bsrmm_large_blockdim_kernel_extILj32ELj32ELj2EliffffEEvb20rocsparse_direction_T3_S2_llNS_24const_host_device_scalarIT7_EEPKT2_PKS2_PKT4_S2_PKT5_llS5_PT6_ll16rocsparse_order_21rocsparse_index_base_b: ; @_ZN9rocsparseL31bsrmm_large_blockdim_kernel_extILj32ELj32ELj2EliffffEEvb20rocsparse_direction_T3_S2_llNS_24const_host_device_scalarIT7_EEPKT2_PKS2_PKT4_S2_PKT5_llS5_PT6_ll16rocsparse_order_21rocsparse_index_base_b
; %bb.0:
	s_clause 0x2
	s_load_b96 s[20:22], s[0:1], 0x80
	s_load_b64 s[6:7], s[0:1], 0x20
	s_load_b64 s[24:25], s[0:1], 0x60
	s_wait_kmcnt 0x0
	s_bitcmp1_b32 s22, 0
	s_cselect_b32 s2, -1, 0
	s_delay_alu instid0(SALU_CYCLE_1)
	s_and_b32 vcc_lo, exec_lo, s2
	s_xor_b32 s2, s2, -1
	s_cbranch_vccnz .LBB7_2
; %bb.1:
	s_load_b32 s6, s[6:7], 0x0
.LBB7_2:
	s_and_not1_b32 vcc_lo, exec_lo, s2
	s_cbranch_vccnz .LBB7_4
; %bb.3:
	s_load_b32 s24, s[24:25], 0x0
.LBB7_4:
	s_wait_kmcnt 0x0
	s_cmp_eq_f32 s6, 0
	s_cselect_b32 s2, -1, 0
	s_cmp_eq_f32 s24, 1.0
	s_cselect_b32 s3, -1, 0
	s_delay_alu instid0(SALU_CYCLE_1) | instskip(NEXT) | instid1(SALU_CYCLE_1)
	s_and_b32 s2, s2, s3
	s_and_b32 vcc_lo, exec_lo, s2
	s_cbranch_vccnz .LBB7_48
; %bb.5:
	s_clause 0x1
	s_load_b128 s[8:11], s[0:1], 0x0
	s_load_b64 s[2:3], s[0:1], 0x28
	s_bfe_u32 s4, ttmp6, 0x4000c
	s_and_b32 s5, ttmp6, 15
	s_add_co_i32 s4, s4, 1
	s_mov_b64 s[26:27], 0
	s_mul_i32 s7, ttmp9, s4
	s_getreg_b32 s4, hwreg(HW_REG_IB_STS2, 6, 4)
	s_add_co_i32 s5, s5, s7
	s_cmp_eq_u32 s4, 0
	s_mov_b64 s[28:29], 0
	s_cselect_b32 s22, ttmp9, s5
	s_wait_kmcnt 0x0
	s_cmp_lt_i32 s22, s10
	s_cselect_b32 s7, -1, 0
	s_cmp_ge_i32 s22, s10
	s_cbranch_scc1 .LBB7_7
; %bb.6:
	s_ashr_i32 s23, s22, 31
	s_mov_b32 s15, 0
	s_lshl_b64 s[12:13], s[22:23], 3
	s_mov_b32 s14, s21
	s_add_nc_u64 s[12:13], s[2:3], s[12:13]
	s_load_b64 s[12:13], s[12:13], 0x0
	s_wait_kmcnt 0x0
	s_sub_nc_u64 s[28:29], s[12:13], s[14:15]
.LBB7_7:
	s_and_not1_b32 vcc_lo, exec_lo, s7
	s_cbranch_vccnz .LBB7_9
; %bb.8:
	s_ashr_i32 s23, s22, 31
	s_delay_alu instid0(SALU_CYCLE_1) | instskip(NEXT) | instid1(SALU_CYCLE_1)
	s_lshl_b64 s[12:13], s[22:23], 3
	s_add_nc_u64 s[2:3], s[2:3], s[12:13]
	s_mov_b32 s13, 0
	s_load_b64 s[2:3], s[2:3], 0x8
	s_mov_b32 s12, s21
	s_wait_kmcnt 0x0
	s_sub_nc_u64 s[26:27], s[2:3], s[12:13]
.LBB7_9:
	s_bfe_u32 s2, ttmp6, 0x40010
	s_load_b32 s10, s[0:1], 0x40
	s_add_co_i32 s2, s2, 1
	s_bfe_u32 s3, ttmp6, 0x40004
	s_mul_i32 s2, ttmp7, s2
	v_bfe_u32 v4, v0, 10, 10
	s_add_co_i32 s3, s3, s2
	s_cmp_eq_u32 s4, 0
	v_and_b32_e32 v16, 0x3ff, v0
	s_cselect_b32 s2, ttmp7, s3
	s_mov_b32 s31, 0
	v_lshl_add_u32 v2, s2, 6, v4
	v_cmp_ge_i64_e64 s2, s[28:29], s[26:27]
	s_delay_alu instid0(VALU_DEP_2)
	v_add_nc_u32_e32 v0, 32, v2
	v_cmp_gt_i32_e64 s3, s11, v2
	s_and_b32 vcc_lo, exec_lo, s2
	s_wait_kmcnt 0x0
	v_cmp_gt_i32_e64 s2, s10, v16
	v_cmp_gt_i32_e64 s4, s11, v0
	s_cbranch_vccnz .LBB7_27
; %bb.10:
	s_clause 0x1
	s_load_b128 s[12:15], s[0:1], 0x30
	s_load_b128 s[16:19], s[0:1], 0x48
	v_mul_lo_u32 v10, s10, v4
	v_dual_mov_b32 v11, 0 :: v_dual_ashrrev_i32 v3, 31, v2
	v_ashrrev_i32_e32 v1, 31, v0
	v_cmp_gt_i32_e32 vcc_lo, s10, v4
	s_delay_alu instid0(VALU_DEP_3)
	v_dual_mov_b32 v15, v11 :: v_dual_lshlrev_b32 v14, 2, v4
	v_dual_mov_b32 v21, v11 :: v_dual_lshlrev_b32 v20, 2, v16
	s_mul_i32 s30, s10, s10
	s_wait_kmcnt 0x0
	v_lshl_add_u64 v[12:13], v[10:11], 2, s[14:15]
	v_mul_u64_e32 v[6:7], s[18:19], v[2:3]
	v_mul_u64_e32 v[8:9], s[18:19], v[0:1]
	v_mul_lo_u32 v10, s10, v16
	s_delay_alu instid0(VALU_DEP_1)
	v_lshl_add_u64 v[10:11], v[10:11], 2, s[14:15]
	s_and_b32 s14, s2, vcc_lo
	s_bitcmp1_b32 s8, 0
	s_cselect_b32 s5, -1, 0
	s_cmp_eq_u32 s9, 0
	v_add_nc_u64_e32 v[10:11], v[10:11], v[14:15]
	s_cselect_b32 vcc_lo, -1, 0
	v_lshlrev_b32_e32 v17, 7, v4
	v_add_nc_u64_e32 v[4:5], v[12:13], v[20:21]
	v_lshlrev_b32_e32 v12, 7, v16
	v_or_b32_e32 v13, 0x2000, v14
	s_delay_alu instid0(VALU_DEP_2) | instskip(NEXT) | instid1(VALU_DEP_4)
	v_dual_cndmask_b32 v11, v5, v11 :: v_dual_add_nc_u32 v18, 0x2000, v12
	v_dual_cndmask_b32 v10, v4, v10 :: v_dual_add_nc_u32 v19, 0x1000, v17
	v_mov_b64_e32 v[4:5], 0
	s_delay_alu instid0(VALU_DEP_4)
	v_dual_add_nc_u32 v20, v20, v17 :: v_dual_add_nc_u32 v21, v13, v12
	s_branch .LBB7_13
.LBB7_11:                               ;   in Loop: Header=BB7_13 Depth=1
	s_or_b32 exec_lo, exec_lo, s9
.LBB7_12:                               ;   in Loop: Header=BB7_13 Depth=1
	s_delay_alu instid0(SALU_CYCLE_1) | instskip(SKIP_1) | instid1(SALU_CYCLE_1)
	s_or_b32 exec_lo, exec_lo, s8
	s_add_nc_u64 s[28:29], s[28:29], 1
	v_cmp_ge_i64_e64 s8, s[28:29], s[26:27]
	s_barrier_signal -1
	s_barrier_wait -1
	s_and_b32 vcc_lo, exec_lo, s8
	s_cbranch_vccnz .LBB7_28
.LBB7_13:                               ; =>This Loop Header: Depth=1
                                        ;     Child Loop BB7_23 Depth 2
                                        ;     Child Loop BB7_26 Depth 2
	s_and_saveexec_b32 s8, s2
	s_cbranch_execz .LBB7_18
; %bb.14:                               ;   in Loop: Header=BB7_13 Depth=1
	s_lshl_b64 s[34:35], s[28:29], 2
	s_delay_alu instid0(SALU_CYCLE_1) | instskip(SKIP_3) | instid1(SALU_CYCLE_1)
	s_add_nc_u64 s[34:35], s[12:13], s[34:35]
	s_load_b32 s9, s[34:35], 0x0
	s_wait_kmcnt 0x0
	s_sub_co_i32 s9, s9, s21
	v_mad_u32 v14, s9, s10, v16
	s_delay_alu instid0(VALU_DEP_1) | instskip(NEXT) | instid1(VALU_DEP_1)
	v_ashrrev_i32_e32 v15, 31, v14
	v_mul_u64_e32 v[12:13], s[18:19], v[14:15]
	v_lshl_add_u64 v[14:15], v[14:15], 2, s[16:17]
	s_delay_alu instid0(VALU_DEP_2)
	v_lshl_add_u64 v[12:13], v[12:13], 2, s[16:17]
	s_and_saveexec_b32 s9, s3
	s_cbranch_execz .LBB7_16
; %bb.15:                               ;   in Loop: Header=BB7_13 Depth=1
	s_delay_alu instid0(VALU_DEP_1) | instskip(SKIP_1) | instid1(VALU_DEP_1)
	v_lshl_add_u64 v[22:23], v[2:3], 2, v[12:13]
	v_lshl_add_u64 v[24:25], v[6:7], 2, v[14:15]
	v_dual_cndmask_b32 v23, v23, v25, s5 :: v_dual_cndmask_b32 v22, v22, v24, s5
	global_load_b32 v22, v[22:23], off
	s_wait_loadcnt 0x0
	ds_store_b32 v20, v22
.LBB7_16:                               ;   in Loop: Header=BB7_13 Depth=1
	s_or_b32 exec_lo, exec_lo, s9
	s_delay_alu instid0(SALU_CYCLE_1)
	s_and_b32 exec_lo, exec_lo, s4
	s_cbranch_execz .LBB7_18
; %bb.17:                               ;   in Loop: Header=BB7_13 Depth=1
	v_lshl_add_u64 v[14:15], v[8:9], 2, v[14:15]
	v_lshl_add_u64 v[12:13], v[0:1], 2, v[12:13]
	s_delay_alu instid0(VALU_DEP_1)
	v_dual_cndmask_b32 v13, v13, v15, s5 :: v_dual_cndmask_b32 v12, v12, v14, s5
	global_load_b32 v12, v[12:13], off
	s_wait_loadcnt 0x0
	ds_store_b32 v20, v12 offset:4096
.LBB7_18:                               ;   in Loop: Header=BB7_13 Depth=1
	s_or_b32 exec_lo, exec_lo, s8
	s_and_saveexec_b32 s8, s14
	s_cbranch_execz .LBB7_20
; %bb.19:                               ;   in Loop: Header=BB7_13 Depth=1
	s_mul_u64 s[34:35], s[28:29], s[30:31]
	s_delay_alu instid0(SALU_CYCLE_1)
	v_lshl_add_u64 v[12:13], s[34:35], 2, v[10:11]
	global_load_b32 v12, v[12:13], off
	s_wait_loadcnt 0x0
	ds_store_b32 v21, v12
.LBB7_20:                               ;   in Loop: Header=BB7_13 Depth=1
	s_or_b32 exec_lo, exec_lo, s8
	s_wait_dscnt 0x0
	s_barrier_signal -1
	s_barrier_wait -1
	s_and_saveexec_b32 s8, s2
	s_cbranch_execz .LBB7_12
; %bb.21:                               ;   in Loop: Header=BB7_13 Depth=1
	s_and_saveexec_b32 s9, s3
	s_cbranch_execz .LBB7_24
; %bb.22:                               ;   in Loop: Header=BB7_13 Depth=1
	v_dual_mov_b32 v12, v18 :: v_dual_mov_b32 v13, v17
	s_mov_b32 s15, s10
.LBB7_23:                               ;   Parent Loop BB7_13 Depth=1
                                        ; =>  This Inner Loop Header: Depth=2
	ds_load_b32 v14, v12
	ds_load_b32 v15, v13
	v_dual_add_nc_u32 v13, 4, v13 :: v_dual_add_nc_u32 v12, 4, v12
	s_add_co_i32 s15, s15, -1
	s_delay_alu instid0(SALU_CYCLE_1)
	s_cmp_lg_u32 s15, 0
	s_wait_dscnt 0x0
	v_fma_f32 v4, v14, v15, v4
	s_cbranch_scc1 .LBB7_23
.LBB7_24:                               ;   in Loop: Header=BB7_13 Depth=1
	s_or_b32 exec_lo, exec_lo, s9
	s_and_saveexec_b32 s9, s4
	s_cbranch_execz .LBB7_11
; %bb.25:                               ;   in Loop: Header=BB7_13 Depth=1
	v_dual_mov_b32 v12, v18 :: v_dual_mov_b32 v13, v19
	s_mov_b32 s15, s10
.LBB7_26:                               ;   Parent Loop BB7_13 Depth=1
                                        ; =>  This Inner Loop Header: Depth=2
	ds_load_b32 v14, v12
	ds_load_b32 v15, v13
	v_dual_add_nc_u32 v13, 4, v13 :: v_dual_add_nc_u32 v12, 4, v12
	s_add_co_i32 s15, s15, -1
	s_delay_alu instid0(SALU_CYCLE_1)
	s_cmp_lg_u32 s15, 0
	s_wait_dscnt 0x0
	v_fma_f32 v5, v14, v15, v5
	s_cbranch_scc1 .LBB7_26
	s_branch .LBB7_11
.LBB7_27:
	v_mov_b64_e32 v[4:5], 0
.LBB7_28:
	s_load_b64 s[4:5], s[0:1], 0x68
	s_and_b32 s2, s7, s2
	s_delay_alu instid0(SALU_CYCLE_1)
	s_and_saveexec_b32 s3, s2
	s_cbranch_execz .LBB7_48
; %bb.29:
	s_load_b64 s[2:3], s[0:1], 0x70
	v_mad_u32 v6, s10, s22, v16
	s_cmp_neq_f32 s24, 0
	s_wait_xcnt 0x0
	s_mov_b32 s0, exec_lo
	s_cselect_b32 s7, -1, 0
	s_cmp_lg_u32 s20, 1
	s_cselect_b32 s1, -1, 0
	s_delay_alu instid0(VALU_DEP_1) | instskip(SKIP_1) | instid1(VALU_DEP_1)
	v_ashrrev_i32_e32 v7, 31, v6
	s_wait_kmcnt 0x0
	v_mul_u64_e32 v[8:9], s[2:3], v[6:7]
	v_lshl_add_u64 v[6:7], v[6:7], 2, s[4:5]
	s_delay_alu instid0(VALU_DEP_2)
	v_lshl_add_u64 v[8:9], v[8:9], 2, s[4:5]
	v_cmpx_gt_i32_e64 s11, v2
	s_cbranch_execz .LBB7_41
; %bb.30:
	v_ashrrev_i32_e32 v3, 31, v2
	s_and_b32 vcc_lo, exec_lo, s7
	s_cbranch_vccz .LBB7_36
; %bb.31:
	s_and_b32 vcc_lo, exec_lo, s1
	s_mov_b32 s4, -1
	s_cbranch_vccz .LBB7_33
; %bb.32:
	v_lshl_add_u64 v[10:11], v[2:3], 2, v[8:9]
	v_mul_f32_e32 v12, s6, v4
	s_mov_b32 s4, 0
	global_load_b32 v1, v[10:11], off
	s_wait_loadcnt 0x0
	v_fmac_f32_e32 v12, s24, v1
	global_store_b32 v[10:11], v12, off
.LBB7_33:
	s_and_not1_b32 vcc_lo, exec_lo, s4
	s_cbranch_vccnz .LBB7_35
; %bb.34:
	s_wait_xcnt 0x0
	v_mul_u64_e32 v[10:11], s[2:3], v[2:3]
	v_mul_f32_e32 v12, s6, v4
	s_delay_alu instid0(VALU_DEP_2)
	v_lshl_add_u64 v[10:11], v[10:11], 2, v[6:7]
	global_load_b32 v1, v[10:11], off
	s_wait_loadcnt 0x0
	v_fmac_f32_e32 v12, s24, v1
	global_store_b32 v[10:11], v12, off
.LBB7_35:
	s_cbranch_execz .LBB7_37
	s_branch .LBB7_41
.LBB7_36:
.LBB7_37:
	v_mul_f32_e32 v1, s6, v4
	s_and_b32 vcc_lo, exec_lo, s1
	s_mov_b32 s4, -1
	s_cbranch_vccz .LBB7_39
; %bb.38:
	s_wait_xcnt 0x0
	v_lshl_add_u64 v[10:11], v[2:3], 2, v[8:9]
	s_mov_b32 s4, 0
	global_store_b32 v[10:11], v1, off
.LBB7_39:
	s_and_not1_b32 vcc_lo, exec_lo, s4
	s_cbranch_vccnz .LBB7_41
; %bb.40:
	v_mul_u64_e32 v[2:3], s[2:3], v[2:3]
	s_delay_alu instid0(VALU_DEP_1)
	v_lshl_add_u64 v[2:3], v[2:3], 2, v[6:7]
	global_store_b32 v[2:3], v1, off
.LBB7_41:
	s_wait_xcnt 0x0
	s_or_b32 exec_lo, exec_lo, s0
	v_cmp_gt_i32_e32 vcc_lo, s11, v0
	s_and_b32 exec_lo, exec_lo, vcc_lo
	s_cbranch_execz .LBB7_48
; %bb.42:
	v_cndmask_b32_e64 v2, 0, 1, s1
	v_ashrrev_i32_e32 v1, 31, v0
	s_and_not1_b32 vcc_lo, exec_lo, s7
	s_delay_alu instid0(VALU_DEP_2)
	v_cmp_ne_u32_e64 s0, 1, v2
	s_cbranch_vccnz .LBB7_49
; %bb.43:
	s_and_b32 vcc_lo, exec_lo, s0
	s_mov_b32 s0, -1
	s_cbranch_vccnz .LBB7_45
; %bb.44:
	v_lshl_add_u64 v[2:3], v[0:1], 2, v[8:9]
	v_mul_f32_e32 v10, s6, v5
	s_mov_b32 s0, 0
	global_load_b32 v4, v[2:3], off
	s_wait_loadcnt 0x0
	v_fmac_f32_e32 v10, s24, v4
	global_store_b32 v[2:3], v10, off
.LBB7_45:
	s_and_not1_b32 vcc_lo, exec_lo, s0
	s_cbranch_vccnz .LBB7_47
; %bb.46:
	s_wait_xcnt 0x0
	v_mul_u64_e32 v[2:3], s[2:3], v[0:1]
	v_mul_f32_e32 v10, s6, v5
	s_delay_alu instid0(VALU_DEP_2)
	v_lshl_add_u64 v[2:3], v[2:3], 2, v[6:7]
	global_load_b32 v4, v[2:3], off
	s_wait_loadcnt 0x0
	v_fmac_f32_e32 v10, s24, v4
	global_store_b32 v[2:3], v10, off
.LBB7_47:
	s_cbranch_execz .LBB7_50
.LBB7_48:
	s_endpgm
.LBB7_49:
.LBB7_50:
	s_wait_xcnt 0x0
	v_mul_f32_e32 v2, s6, v5
	s_and_not1_b32 vcc_lo, exec_lo, s1
	s_mov_b32 s0, -1
	s_cbranch_vccnz .LBB7_52
; %bb.51:
	v_lshl_add_u64 v[4:5], v[0:1], 2, v[8:9]
	s_mov_b32 s0, 0
	global_store_b32 v[4:5], v2, off
.LBB7_52:
	s_and_not1_b32 vcc_lo, exec_lo, s0
	s_cbranch_vccnz .LBB7_48
; %bb.53:
	v_mul_u64_e32 v[0:1], s[2:3], v[0:1]
	s_delay_alu instid0(VALU_DEP_1)
	v_lshl_add_u64 v[0:1], v[0:1], 2, v[6:7]
	global_store_b32 v[0:1], v2, off
	s_endpgm
	.section	.rodata,"a",@progbits
	.p2align	6, 0x0
	.amdhsa_kernel _ZN9rocsparseL31bsrmm_large_blockdim_kernel_extILj32ELj32ELj2EliffffEEvb20rocsparse_direction_T3_S2_llNS_24const_host_device_scalarIT7_EEPKT2_PKS2_PKT4_S2_PKT5_llS5_PT6_ll16rocsparse_order_21rocsparse_index_base_b
		.amdhsa_group_segment_fixed_size 12288
		.amdhsa_private_segment_fixed_size 0
		.amdhsa_kernarg_size 140
		.amdhsa_user_sgpr_count 2
		.amdhsa_user_sgpr_dispatch_ptr 0
		.amdhsa_user_sgpr_queue_ptr 0
		.amdhsa_user_sgpr_kernarg_segment_ptr 1
		.amdhsa_user_sgpr_dispatch_id 0
		.amdhsa_user_sgpr_kernarg_preload_length 0
		.amdhsa_user_sgpr_kernarg_preload_offset 0
		.amdhsa_user_sgpr_private_segment_size 0
		.amdhsa_wavefront_size32 1
		.amdhsa_uses_dynamic_stack 0
		.amdhsa_enable_private_segment 0
		.amdhsa_system_sgpr_workgroup_id_x 1
		.amdhsa_system_sgpr_workgroup_id_y 1
		.amdhsa_system_sgpr_workgroup_id_z 0
		.amdhsa_system_sgpr_workgroup_info 0
		.amdhsa_system_vgpr_workitem_id 1
		.amdhsa_next_free_vgpr 26
		.amdhsa_next_free_sgpr 36
		.amdhsa_named_barrier_count 0
		.amdhsa_reserve_vcc 1
		.amdhsa_float_round_mode_32 0
		.amdhsa_float_round_mode_16_64 0
		.amdhsa_float_denorm_mode_32 3
		.amdhsa_float_denorm_mode_16_64 3
		.amdhsa_fp16_overflow 0
		.amdhsa_memory_ordered 1
		.amdhsa_forward_progress 1
		.amdhsa_inst_pref_size 14
		.amdhsa_round_robin_scheduling 0
		.amdhsa_exception_fp_ieee_invalid_op 0
		.amdhsa_exception_fp_denorm_src 0
		.amdhsa_exception_fp_ieee_div_zero 0
		.amdhsa_exception_fp_ieee_overflow 0
		.amdhsa_exception_fp_ieee_underflow 0
		.amdhsa_exception_fp_ieee_inexact 0
		.amdhsa_exception_int_div_zero 0
	.end_amdhsa_kernel
	.section	.text._ZN9rocsparseL31bsrmm_large_blockdim_kernel_extILj32ELj32ELj2EliffffEEvb20rocsparse_direction_T3_S2_llNS_24const_host_device_scalarIT7_EEPKT2_PKS2_PKT4_S2_PKT5_llS5_PT6_ll16rocsparse_order_21rocsparse_index_base_b,"axG",@progbits,_ZN9rocsparseL31bsrmm_large_blockdim_kernel_extILj32ELj32ELj2EliffffEEvb20rocsparse_direction_T3_S2_llNS_24const_host_device_scalarIT7_EEPKT2_PKS2_PKT4_S2_PKT5_llS5_PT6_ll16rocsparse_order_21rocsparse_index_base_b,comdat
.Lfunc_end7:
	.size	_ZN9rocsparseL31bsrmm_large_blockdim_kernel_extILj32ELj32ELj2EliffffEEvb20rocsparse_direction_T3_S2_llNS_24const_host_device_scalarIT7_EEPKT2_PKS2_PKT4_S2_PKT5_llS5_PT6_ll16rocsparse_order_21rocsparse_index_base_b, .Lfunc_end7-_ZN9rocsparseL31bsrmm_large_blockdim_kernel_extILj32ELj32ELj2EliffffEEvb20rocsparse_direction_T3_S2_llNS_24const_host_device_scalarIT7_EEPKT2_PKS2_PKT4_S2_PKT5_llS5_PT6_ll16rocsparse_order_21rocsparse_index_base_b
                                        ; -- End function
	.set _ZN9rocsparseL31bsrmm_large_blockdim_kernel_extILj32ELj32ELj2EliffffEEvb20rocsparse_direction_T3_S2_llNS_24const_host_device_scalarIT7_EEPKT2_PKS2_PKT4_S2_PKT5_llS5_PT6_ll16rocsparse_order_21rocsparse_index_base_b.num_vgpr, 26
	.set _ZN9rocsparseL31bsrmm_large_blockdim_kernel_extILj32ELj32ELj2EliffffEEvb20rocsparse_direction_T3_S2_llNS_24const_host_device_scalarIT7_EEPKT2_PKS2_PKT4_S2_PKT5_llS5_PT6_ll16rocsparse_order_21rocsparse_index_base_b.num_agpr, 0
	.set _ZN9rocsparseL31bsrmm_large_blockdim_kernel_extILj32ELj32ELj2EliffffEEvb20rocsparse_direction_T3_S2_llNS_24const_host_device_scalarIT7_EEPKT2_PKS2_PKT4_S2_PKT5_llS5_PT6_ll16rocsparse_order_21rocsparse_index_base_b.numbered_sgpr, 36
	.set _ZN9rocsparseL31bsrmm_large_blockdim_kernel_extILj32ELj32ELj2EliffffEEvb20rocsparse_direction_T3_S2_llNS_24const_host_device_scalarIT7_EEPKT2_PKS2_PKT4_S2_PKT5_llS5_PT6_ll16rocsparse_order_21rocsparse_index_base_b.num_named_barrier, 0
	.set _ZN9rocsparseL31bsrmm_large_blockdim_kernel_extILj32ELj32ELj2EliffffEEvb20rocsparse_direction_T3_S2_llNS_24const_host_device_scalarIT7_EEPKT2_PKS2_PKT4_S2_PKT5_llS5_PT6_ll16rocsparse_order_21rocsparse_index_base_b.private_seg_size, 0
	.set _ZN9rocsparseL31bsrmm_large_blockdim_kernel_extILj32ELj32ELj2EliffffEEvb20rocsparse_direction_T3_S2_llNS_24const_host_device_scalarIT7_EEPKT2_PKS2_PKT4_S2_PKT5_llS5_PT6_ll16rocsparse_order_21rocsparse_index_base_b.uses_vcc, 1
	.set _ZN9rocsparseL31bsrmm_large_blockdim_kernel_extILj32ELj32ELj2EliffffEEvb20rocsparse_direction_T3_S2_llNS_24const_host_device_scalarIT7_EEPKT2_PKS2_PKT4_S2_PKT5_llS5_PT6_ll16rocsparse_order_21rocsparse_index_base_b.uses_flat_scratch, 0
	.set _ZN9rocsparseL31bsrmm_large_blockdim_kernel_extILj32ELj32ELj2EliffffEEvb20rocsparse_direction_T3_S2_llNS_24const_host_device_scalarIT7_EEPKT2_PKS2_PKT4_S2_PKT5_llS5_PT6_ll16rocsparse_order_21rocsparse_index_base_b.has_dyn_sized_stack, 0
	.set _ZN9rocsparseL31bsrmm_large_blockdim_kernel_extILj32ELj32ELj2EliffffEEvb20rocsparse_direction_T3_S2_llNS_24const_host_device_scalarIT7_EEPKT2_PKS2_PKT4_S2_PKT5_llS5_PT6_ll16rocsparse_order_21rocsparse_index_base_b.has_recursion, 0
	.set _ZN9rocsparseL31bsrmm_large_blockdim_kernel_extILj32ELj32ELj2EliffffEEvb20rocsparse_direction_T3_S2_llNS_24const_host_device_scalarIT7_EEPKT2_PKS2_PKT4_S2_PKT5_llS5_PT6_ll16rocsparse_order_21rocsparse_index_base_b.has_indirect_call, 0
	.section	.AMDGPU.csdata,"",@progbits
; Kernel info:
; codeLenInByte = 1712
; TotalNumSgprs: 38
; NumVgprs: 26
; ScratchSize: 0
; MemoryBound: 0
; FloatMode: 240
; IeeeMode: 1
; LDSByteSize: 12288 bytes/workgroup (compile time only)
; SGPRBlocks: 0
; VGPRBlocks: 1
; NumSGPRsForWavesPerEU: 38
; NumVGPRsForWavesPerEU: 26
; NamedBarCnt: 0
; Occupancy: 16
; WaveLimiterHint : 1
; COMPUTE_PGM_RSRC2:SCRATCH_EN: 0
; COMPUTE_PGM_RSRC2:USER_SGPR: 2
; COMPUTE_PGM_RSRC2:TRAP_HANDLER: 0
; COMPUTE_PGM_RSRC2:TGID_X_EN: 1
; COMPUTE_PGM_RSRC2:TGID_Y_EN: 1
; COMPUTE_PGM_RSRC2:TGID_Z_EN: 0
; COMPUTE_PGM_RSRC2:TIDIG_COMP_CNT: 1
	.section	.text._ZN9rocsparseL31bsrmm_large_blockdim_kernel_extILj8ELj8ELj2EllffffEEvb20rocsparse_direction_T3_S2_llNS_24const_host_device_scalarIT7_EEPKT2_PKS2_PKT4_S2_PKT5_llS5_PT6_ll16rocsparse_order_21rocsparse_index_base_b,"axG",@progbits,_ZN9rocsparseL31bsrmm_large_blockdim_kernel_extILj8ELj8ELj2EllffffEEvb20rocsparse_direction_T3_S2_llNS_24const_host_device_scalarIT7_EEPKT2_PKS2_PKT4_S2_PKT5_llS5_PT6_ll16rocsparse_order_21rocsparse_index_base_b,comdat
	.globl	_ZN9rocsparseL31bsrmm_large_blockdim_kernel_extILj8ELj8ELj2EllffffEEvb20rocsparse_direction_T3_S2_llNS_24const_host_device_scalarIT7_EEPKT2_PKS2_PKT4_S2_PKT5_llS5_PT6_ll16rocsparse_order_21rocsparse_index_base_b ; -- Begin function _ZN9rocsparseL31bsrmm_large_blockdim_kernel_extILj8ELj8ELj2EllffffEEvb20rocsparse_direction_T3_S2_llNS_24const_host_device_scalarIT7_EEPKT2_PKS2_PKT4_S2_PKT5_llS5_PT6_ll16rocsparse_order_21rocsparse_index_base_b
	.p2align	8
	.type	_ZN9rocsparseL31bsrmm_large_blockdim_kernel_extILj8ELj8ELj2EllffffEEvb20rocsparse_direction_T3_S2_llNS_24const_host_device_scalarIT7_EEPKT2_PKS2_PKT4_S2_PKT5_llS5_PT6_ll16rocsparse_order_21rocsparse_index_base_b,@function
_ZN9rocsparseL31bsrmm_large_blockdim_kernel_extILj8ELj8ELj2EllffffEEvb20rocsparse_direction_T3_S2_llNS_24const_host_device_scalarIT7_EEPKT2_PKS2_PKT4_S2_PKT5_llS5_PT6_ll16rocsparse_order_21rocsparse_index_base_b: ; @_ZN9rocsparseL31bsrmm_large_blockdim_kernel_extILj8ELj8ELj2EllffffEEvb20rocsparse_direction_T3_S2_llNS_24const_host_device_scalarIT7_EEPKT2_PKS2_PKT4_S2_PKT5_llS5_PT6_ll16rocsparse_order_21rocsparse_index_base_b
; %bb.0:
	s_clause 0x2
	s_load_b96 s[16:18], s[0:1], 0x88
	s_load_b64 s[20:21], s[0:1], 0x28
	s_load_b64 s[22:23], s[0:1], 0x68
	s_wait_kmcnt 0x0
	s_bitcmp1_b32 s18, 0
	s_cselect_b32 s2, -1, 0
	s_delay_alu instid0(SALU_CYCLE_1)
	s_and_b32 vcc_lo, exec_lo, s2
	s_xor_b32 s2, s2, -1
	s_cbranch_vccnz .LBB8_2
; %bb.1:
	s_load_b32 s20, s[20:21], 0x0
.LBB8_2:
	s_and_not1_b32 vcc_lo, exec_lo, s2
	s_cbranch_vccnz .LBB8_4
; %bb.3:
	s_load_b32 s22, s[22:23], 0x0
.LBB8_4:
	s_wait_kmcnt 0x0
	s_cmp_eq_f32 s20, 0
	s_cselect_b32 s2, -1, 0
	s_cmp_eq_f32 s22, 1.0
	s_cselect_b32 s3, -1, 0
	s_delay_alu instid0(SALU_CYCLE_1) | instskip(NEXT) | instid1(SALU_CYCLE_1)
	s_and_b32 s2, s2, s3
	s_and_b32 vcc_lo, exec_lo, s2
	s_cbranch_vccnz .LBB8_48
; %bb.5:
	s_clause 0x1
	s_load_b128 s[4:7], s[0:1], 0x8
	s_load_b64 s[2:3], s[0:1], 0x30
	s_bfe_u32 s8, ttmp6, 0x4000c
	s_and_b32 s9, ttmp6, 15
	s_add_co_i32 s8, s8, 1
	s_mov_b64 s[24:25], 0
	s_mul_i32 s10, ttmp9, s8
	s_getreg_b32 s8, hwreg(HW_REG_IB_STS2, 6, 4)
	s_add_co_i32 s9, s9, s10
	s_cmp_eq_u32 s8, 0
	s_mov_b64 s[26:27], 0
	s_cselect_b32 s18, ttmp9, s9
	s_delay_alu instid0(SALU_CYCLE_1)
	s_ashr_i32 s19, s18, 31
	s_wait_kmcnt 0x0
	v_cmp_le_i64_e64 s9, s[4:5], s[18:19]
	v_cmp_gt_i64_e64 s21, s[4:5], s[18:19]
	s_and_b32 vcc_lo, exec_lo, s9
	s_cbranch_vccnz .LBB8_7
; %bb.6:
	s_lshl_b64 s[4:5], s[18:19], 3
	s_mov_b32 s11, 0
	s_add_nc_u64 s[4:5], s[2:3], s[4:5]
	s_mov_b32 s10, s17
	s_load_b64 s[4:5], s[4:5], 0x0
	s_wait_kmcnt 0x0
	s_sub_nc_u64 s[26:27], s[4:5], s[10:11]
.LBB8_7:
	s_and_not1_b32 vcc_lo, exec_lo, s21
	s_cbranch_vccnz .LBB8_9
; %bb.8:
	s_lshl_b64 s[4:5], s[18:19], 3
	s_delay_alu instid0(SALU_CYCLE_1)
	s_add_nc_u64 s[2:3], s[2:3], s[4:5]
	s_mov_b32 s5, 0
	s_load_b64 s[2:3], s[2:3], 0x8
	s_mov_b32 s4, s17
	s_wait_kmcnt 0x0
	s_sub_nc_u64 s[24:25], s[2:3], s[4:5]
.LBB8_9:
	s_bfe_u32 s2, ttmp6, 0x40010
	s_clause 0x1
	s_load_b64 s[28:29], s[0:1], 0x48
	s_load_b64 s[30:31], s[0:1], 0x70
	s_add_co_i32 s2, s2, 1
	s_bfe_u32 s3, ttmp6, 0x40004
	s_mul_i32 s2, ttmp7, s2
	v_bfe_u32 v4, v0, 10, 10
	s_add_co_i32 s3, s3, s2
	s_cmp_eq_u32 s8, 0
	v_and_b32_e32 v6, 0x3ff, v0
	s_cselect_b32 s2, ttmp7, s3
	v_cmp_ge_i64_e64 s5, s[26:27], s[24:25]
	v_lshl_add_u32 v2, s2, 4, v4
	v_mov_b32_e32 v3, 0
	s_mov_b32 s35, 0
	s_delay_alu instid0(VALU_DEP_1)
	v_dual_mov_b32 v7, v3 :: v_dual_add_nc_u32 v0, 8, v2
	v_mov_b32_e32 v1, v3
	v_cmp_gt_i64_e64 s3, s[6:7], v[2:3]
	s_and_b32 vcc_lo, exec_lo, s5
	s_wait_kmcnt 0x0
	v_cmp_gt_i64_e64 s2, s[28:29], v[6:7]
	v_cmp_gt_i64_e64 s4, s[6:7], v[0:1]
	s_cbranch_vccnz .LBB8_27
; %bb.10:
	v_dual_mov_b32 v5, v3 :: v_dual_lshlrev_b32 v16, 2, v4
	s_load_b128 s[8:11], s[0:1], 0x50
	v_mul_u64_e32 v[12:13], s[28:29], v[6:7]
	s_clause 0x1
	s_load_b128 s[12:15], s[0:1], 0x38
	s_load_b64 s[38:39], s[0:1], 0x0
	v_mul_u64_e32 v[14:15], s[28:29], v[4:5]
	v_cmp_gt_i64_e32 vcc_lo, s[28:29], v[4:5]
	v_dual_mov_b32 v19, v3 :: v_dual_lshlrev_b32 v18, 2, v6
	v_dual_lshlrev_b32 v20, 5, v4 :: v_dual_lshlrev_b32 v24, 5, v6
	v_mov_b32_e32 v17, v3
	v_cmp_gt_i64_e64 s23, s[28:29], 0
	s_and_b32 s19, s2, vcc_lo
	v_add_nc_u32_e32 v22, 0x100, v20
	v_mov_b64_e32 v[4:5], 0
	v_add_nc_u32_e32 v21, 0x200, v24
	s_mul_u64 s[36:37], s[28:29], s[28:29]
	s_mov_b32 s34, s17
	s_wait_kmcnt 0x0
	v_mul_u64_e32 v[8:9], s[10:11], v[2:3]
	v_mul_u64_e32 v[10:11], s[10:11], v[0:1]
	s_bitcmp1_b32 s38, 0
	s_cselect_b32 s5, -1, 0
	s_cmp_eq_u32 s39, 0
	s_cselect_b32 vcc_lo, -1, 0
	s_and_b32 s17, s3, s23
	s_and_b32 s23, s4, s23
	v_lshl_add_u64 v[12:13], v[12:13], 2, s[14:15]
	v_lshl_add_u64 v[14:15], v[14:15], 2, s[14:15]
	s_delay_alu instid0(VALU_DEP_1) | instskip(SKIP_1) | instid1(VALU_DEP_4)
	v_add_nc_u64_e32 v[14:15], v[14:15], v[18:19]
	v_add_nc_u32_e32 v25, 0x200, v16
	v_add_nc_u64_e32 v[16:17], v[12:13], v[16:17]
	v_add_nc_u64_e32 v[12:13], s[8:9], v[18:19]
	s_delay_alu instid0(VALU_DEP_2) | instskip(NEXT) | instid1(VALU_DEP_3)
	v_dual_add_nc_u32 v23, v18, v20 :: v_dual_cndmask_b32 v15, v15, v17, vcc_lo
	v_cndmask_b32_e32 v14, v14, v16, vcc_lo
	v_add_nc_u32_e32 v24, v25, v24
	s_branch .LBB8_13
.LBB8_11:                               ;   in Loop: Header=BB8_13 Depth=1
	s_or_b32 exec_lo, exec_lo, s38
.LBB8_12:                               ;   in Loop: Header=BB8_13 Depth=1
	s_delay_alu instid0(SALU_CYCLE_1) | instskip(SKIP_1) | instid1(SALU_CYCLE_1)
	s_or_b32 exec_lo, exec_lo, s33
	s_add_nc_u64 s[26:27], s[26:27], 1
	v_cmp_ge_i64_e64 s14, s[26:27], s[24:25]
	s_barrier_signal -1
	s_barrier_wait -1
	s_and_b32 vcc_lo, exec_lo, s14
	s_cbranch_vccnz .LBB8_28
.LBB8_13:                               ; =>This Loop Header: Depth=1
                                        ;     Child Loop BB8_23 Depth 2
                                        ;     Child Loop BB8_26 Depth 2
	s_and_saveexec_b32 s14, s2
	s_cbranch_execz .LBB8_18
; %bb.14:                               ;   in Loop: Header=BB8_13 Depth=1
	s_lshl_b64 s[38:39], s[26:27], 3
	s_delay_alu instid0(SALU_CYCLE_1) | instskip(SKIP_3) | instid1(SALU_CYCLE_1)
	s_add_nc_u64 s[38:39], s[12:13], s[38:39]
	s_load_b64 s[38:39], s[38:39], 0x0
	s_wait_kmcnt 0x0
	s_sub_nc_u64 s[38:39], s[38:39], s[34:35]
	s_mul_u64 s[38:39], s[38:39], s[28:29]
	s_delay_alu instid0(SALU_CYCLE_1) | instskip(SKIP_1) | instid1(VALU_DEP_2)
	v_add_nc_u64_e32 v[16:17], s[38:39], v[6:7]
	v_lshl_add_u64 v[18:19], s[38:39], 2, v[12:13]
	v_mul_u64_e32 v[16:17], s[10:11], v[16:17]
	s_delay_alu instid0(VALU_DEP_1)
	v_lshl_add_u64 v[16:17], v[16:17], 2, s[8:9]
	s_and_saveexec_b32 s15, s3
	s_cbranch_execz .LBB8_16
; %bb.15:                               ;   in Loop: Header=BB8_13 Depth=1
	s_delay_alu instid0(VALU_DEP_1) | instskip(SKIP_1) | instid1(VALU_DEP_1)
	v_lshl_add_u64 v[26:27], v[2:3], 2, v[16:17]
	v_lshl_add_u64 v[28:29], v[8:9], 2, v[18:19]
	v_dual_cndmask_b32 v27, v27, v29, s5 :: v_dual_cndmask_b32 v26, v26, v28, s5
	global_load_b32 v25, v[26:27], off
	s_wait_loadcnt 0x0
	ds_store_b32 v23, v25
.LBB8_16:                               ;   in Loop: Header=BB8_13 Depth=1
	s_or_b32 exec_lo, exec_lo, s15
	s_delay_alu instid0(SALU_CYCLE_1)
	s_and_b32 exec_lo, exec_lo, s4
	s_cbranch_execz .LBB8_18
; %bb.17:                               ;   in Loop: Header=BB8_13 Depth=1
	v_lshl_add_u64 v[18:19], v[10:11], 2, v[18:19]
	v_lshl_add_u64 v[16:17], v[0:1], 2, v[16:17]
	s_delay_alu instid0(VALU_DEP_1)
	v_dual_cndmask_b32 v17, v17, v19, s5 :: v_dual_cndmask_b32 v16, v16, v18, s5
	global_load_b32 v16, v[16:17], off
	s_wait_loadcnt 0x0
	ds_store_b32 v23, v16 offset:256
.LBB8_18:                               ;   in Loop: Header=BB8_13 Depth=1
	s_or_b32 exec_lo, exec_lo, s14
	s_and_saveexec_b32 s14, s19
	s_cbranch_execz .LBB8_20
; %bb.19:                               ;   in Loop: Header=BB8_13 Depth=1
	s_mul_u64 s[38:39], s[36:37], s[26:27]
	s_delay_alu instid0(SALU_CYCLE_1)
	v_lshl_add_u64 v[16:17], s[38:39], 2, v[14:15]
	global_load_b32 v16, v[16:17], off
	s_wait_loadcnt 0x0
	ds_store_b32 v24, v16
.LBB8_20:                               ;   in Loop: Header=BB8_13 Depth=1
	s_or_b32 exec_lo, exec_lo, s14
	s_wait_dscnt 0x0
	s_barrier_signal -1
	s_barrier_wait -1
	s_and_saveexec_b32 s33, s2
	s_cbranch_execz .LBB8_12
; %bb.21:                               ;   in Loop: Header=BB8_13 Depth=1
	s_and_saveexec_b32 s38, s17
	s_cbranch_execz .LBB8_24
; %bb.22:                               ;   in Loop: Header=BB8_13 Depth=1
	v_dual_mov_b32 v16, v21 :: v_dual_mov_b32 v17, v20
	s_mov_b64 s[14:15], s[28:29]
.LBB8_23:                               ;   Parent Loop BB8_13 Depth=1
                                        ; =>  This Inner Loop Header: Depth=2
	ds_load_b32 v18, v16
	ds_load_b32 v19, v17
	v_dual_add_nc_u32 v17, 4, v17 :: v_dual_add_nc_u32 v16, 4, v16
	s_add_nc_u64 s[14:15], s[14:15], -1
	s_delay_alu instid0(SALU_CYCLE_1)
	s_cmp_lg_u64 s[14:15], 0
	s_wait_dscnt 0x0
	v_fma_f32 v4, v18, v19, v4
	s_cbranch_scc1 .LBB8_23
.LBB8_24:                               ;   in Loop: Header=BB8_13 Depth=1
	s_or_b32 exec_lo, exec_lo, s38
	s_and_saveexec_b32 s38, s23
	s_cbranch_execz .LBB8_11
; %bb.25:                               ;   in Loop: Header=BB8_13 Depth=1
	v_dual_mov_b32 v16, v21 :: v_dual_mov_b32 v17, v22
	s_mov_b64 s[14:15], s[28:29]
.LBB8_26:                               ;   Parent Loop BB8_13 Depth=1
                                        ; =>  This Inner Loop Header: Depth=2
	ds_load_b32 v18, v16
	ds_load_b32 v19, v17
	v_dual_add_nc_u32 v17, 4, v17 :: v_dual_add_nc_u32 v16, 4, v16
	s_add_nc_u64 s[14:15], s[14:15], -1
	s_delay_alu instid0(SALU_CYCLE_1)
	s_cmp_lg_u64 s[14:15], 0
	s_wait_dscnt 0x0
	v_fma_f32 v5, v18, v19, v5
	s_cbranch_scc1 .LBB8_26
	s_branch .LBB8_11
.LBB8_27:
	v_mov_b64_e32 v[4:5], 0
.LBB8_28:
	s_and_b32 s2, s21, s2
	s_delay_alu instid0(SALU_CYCLE_1)
	s_and_saveexec_b32 s3, s2
	s_cbranch_execz .LBB8_48
; %bb.29:
	v_mad_nc_u64_u32 v[6:7], s28, s18, v[6:7]
	s_load_b64 s[2:3], s[0:1], 0x78
	s_cmp_neq_f32 s22, 0
	s_wait_xcnt 0x0
	s_mov_b32 s0, exec_lo
	s_cselect_b32 s4, -1, 0
	s_cmp_lg_u32 s16, 1
	s_cselect_b32 s1, -1, 0
	s_delay_alu instid0(VALU_DEP_1) | instskip(SKIP_1) | instid1(VALU_DEP_1)
	v_mad_u32 v7, s29, s18, v7
	s_wait_kmcnt 0x0
	v_mul_u64_e32 v[8:9], s[2:3], v[6:7]
	v_lshl_add_u64 v[6:7], v[6:7], 2, s[30:31]
	s_delay_alu instid0(VALU_DEP_2)
	v_lshl_add_u64 v[8:9], v[8:9], 2, s[30:31]
	v_cmpx_gt_i64_e64 s[6:7], v[2:3]
	s_cbranch_execz .LBB8_41
; %bb.30:
	s_and_b32 vcc_lo, exec_lo, s4
	s_cbranch_vccz .LBB8_36
; %bb.31:
	s_and_b32 vcc_lo, exec_lo, s1
	s_mov_b32 s5, -1
	s_cbranch_vccz .LBB8_33
; %bb.32:
	v_lshl_add_u64 v[10:11], v[2:3], 2, v[8:9]
	v_mul_f32_e32 v13, s20, v4
	s_mov_b32 s5, 0
	global_load_b32 v12, v[10:11], off
	s_wait_loadcnt 0x0
	v_fmac_f32_e32 v13, s22, v12
	global_store_b32 v[10:11], v13, off
.LBB8_33:
	s_and_not1_b32 vcc_lo, exec_lo, s5
	s_cbranch_vccnz .LBB8_35
; %bb.34:
	s_wait_xcnt 0x0
	v_mul_u64_e32 v[10:11], s[2:3], v[2:3]
	v_mul_f32_e32 v13, s20, v4
	s_delay_alu instid0(VALU_DEP_2)
	v_lshl_add_u64 v[10:11], v[10:11], 2, v[6:7]
	global_load_b32 v12, v[10:11], off
	s_wait_loadcnt 0x0
	v_fmac_f32_e32 v13, s22, v12
	global_store_b32 v[10:11], v13, off
.LBB8_35:
	s_cbranch_execz .LBB8_37
	s_branch .LBB8_41
.LBB8_36:
.LBB8_37:
	v_mul_f32_e32 v4, s20, v4
	s_and_b32 vcc_lo, exec_lo, s1
	s_mov_b32 s5, -1
	s_cbranch_vccz .LBB8_39
; %bb.38:
	s_wait_xcnt 0x0
	v_lshl_add_u64 v[10:11], v[2:3], 2, v[8:9]
	s_mov_b32 s5, 0
	global_store_b32 v[10:11], v4, off
.LBB8_39:
	s_and_not1_b32 vcc_lo, exec_lo, s5
	s_cbranch_vccnz .LBB8_41
; %bb.40:
	v_mul_u64_e32 v[2:3], s[2:3], v[2:3]
	s_delay_alu instid0(VALU_DEP_1)
	v_lshl_add_u64 v[2:3], v[2:3], 2, v[6:7]
	global_store_b32 v[2:3], v4, off
.LBB8_41:
	s_wait_xcnt 0x0
	s_or_b32 exec_lo, exec_lo, s0
	v_cmp_gt_i64_e32 vcc_lo, s[6:7], v[0:1]
	s_and_b32 exec_lo, exec_lo, vcc_lo
	s_cbranch_execz .LBB8_48
; %bb.42:
	v_cndmask_b32_e64 v2, 0, 1, s1
	s_and_not1_b32 vcc_lo, exec_lo, s4
	s_delay_alu instid0(VALU_DEP_1)
	v_cmp_ne_u32_e64 s0, 1, v2
	s_cbranch_vccnz .LBB8_49
; %bb.43:
	s_and_b32 vcc_lo, exec_lo, s0
	s_mov_b32 s0, -1
	s_cbranch_vccnz .LBB8_45
; %bb.44:
	v_lshl_add_u64 v[2:3], v[0:1], 2, v[8:9]
	v_mul_f32_e32 v10, s20, v5
	s_mov_b32 s0, 0
	global_load_b32 v4, v[2:3], off
	s_wait_loadcnt 0x0
	v_fmac_f32_e32 v10, s22, v4
	global_store_b32 v[2:3], v10, off
.LBB8_45:
	s_and_not1_b32 vcc_lo, exec_lo, s0
	s_cbranch_vccnz .LBB8_47
; %bb.46:
	s_wait_xcnt 0x0
	v_mul_u64_e32 v[2:3], s[2:3], v[0:1]
	v_mul_f32_e32 v10, s20, v5
	s_delay_alu instid0(VALU_DEP_2)
	v_lshl_add_u64 v[2:3], v[2:3], 2, v[6:7]
	global_load_b32 v4, v[2:3], off
	s_wait_loadcnt 0x0
	v_fmac_f32_e32 v10, s22, v4
	global_store_b32 v[2:3], v10, off
.LBB8_47:
	s_cbranch_execz .LBB8_50
.LBB8_48:
	s_endpgm
.LBB8_49:
.LBB8_50:
	s_wait_xcnt 0x0
	v_mul_f32_e32 v2, s20, v5
	s_and_not1_b32 vcc_lo, exec_lo, s1
	s_mov_b32 s0, -1
	s_cbranch_vccnz .LBB8_52
; %bb.51:
	v_lshl_add_u64 v[4:5], v[0:1], 2, v[8:9]
	s_mov_b32 s0, 0
	global_store_b32 v[4:5], v2, off
.LBB8_52:
	s_and_not1_b32 vcc_lo, exec_lo, s0
	s_cbranch_vccnz .LBB8_48
; %bb.53:
	v_mul_u64_e32 v[0:1], s[2:3], v[0:1]
	s_delay_alu instid0(VALU_DEP_1)
	v_lshl_add_u64 v[0:1], v[0:1], 2, v[6:7]
	global_store_b32 v[0:1], v2, off
	s_endpgm
	.section	.rodata,"a",@progbits
	.p2align	6, 0x0
	.amdhsa_kernel _ZN9rocsparseL31bsrmm_large_blockdim_kernel_extILj8ELj8ELj2EllffffEEvb20rocsparse_direction_T3_S2_llNS_24const_host_device_scalarIT7_EEPKT2_PKS2_PKT4_S2_PKT5_llS5_PT6_ll16rocsparse_order_21rocsparse_index_base_b
		.amdhsa_group_segment_fixed_size 768
		.amdhsa_private_segment_fixed_size 0
		.amdhsa_kernarg_size 148
		.amdhsa_user_sgpr_count 2
		.amdhsa_user_sgpr_dispatch_ptr 0
		.amdhsa_user_sgpr_queue_ptr 0
		.amdhsa_user_sgpr_kernarg_segment_ptr 1
		.amdhsa_user_sgpr_dispatch_id 0
		.amdhsa_user_sgpr_kernarg_preload_length 0
		.amdhsa_user_sgpr_kernarg_preload_offset 0
		.amdhsa_user_sgpr_private_segment_size 0
		.amdhsa_wavefront_size32 1
		.amdhsa_uses_dynamic_stack 0
		.amdhsa_enable_private_segment 0
		.amdhsa_system_sgpr_workgroup_id_x 1
		.amdhsa_system_sgpr_workgroup_id_y 1
		.amdhsa_system_sgpr_workgroup_id_z 0
		.amdhsa_system_sgpr_workgroup_info 0
		.amdhsa_system_vgpr_workitem_id 1
		.amdhsa_next_free_vgpr 30
		.amdhsa_next_free_sgpr 40
		.amdhsa_named_barrier_count 0
		.amdhsa_reserve_vcc 1
		.amdhsa_float_round_mode_32 0
		.amdhsa_float_round_mode_16_64 0
		.amdhsa_float_denorm_mode_32 3
		.amdhsa_float_denorm_mode_16_64 3
		.amdhsa_fp16_overflow 0
		.amdhsa_memory_ordered 1
		.amdhsa_forward_progress 1
		.amdhsa_inst_pref_size 14
		.amdhsa_round_robin_scheduling 0
		.amdhsa_exception_fp_ieee_invalid_op 0
		.amdhsa_exception_fp_denorm_src 0
		.amdhsa_exception_fp_ieee_div_zero 0
		.amdhsa_exception_fp_ieee_overflow 0
		.amdhsa_exception_fp_ieee_underflow 0
		.amdhsa_exception_fp_ieee_inexact 0
		.amdhsa_exception_int_div_zero 0
	.end_amdhsa_kernel
	.section	.text._ZN9rocsparseL31bsrmm_large_blockdim_kernel_extILj8ELj8ELj2EllffffEEvb20rocsparse_direction_T3_S2_llNS_24const_host_device_scalarIT7_EEPKT2_PKS2_PKT4_S2_PKT5_llS5_PT6_ll16rocsparse_order_21rocsparse_index_base_b,"axG",@progbits,_ZN9rocsparseL31bsrmm_large_blockdim_kernel_extILj8ELj8ELj2EllffffEEvb20rocsparse_direction_T3_S2_llNS_24const_host_device_scalarIT7_EEPKT2_PKS2_PKT4_S2_PKT5_llS5_PT6_ll16rocsparse_order_21rocsparse_index_base_b,comdat
.Lfunc_end8:
	.size	_ZN9rocsparseL31bsrmm_large_blockdim_kernel_extILj8ELj8ELj2EllffffEEvb20rocsparse_direction_T3_S2_llNS_24const_host_device_scalarIT7_EEPKT2_PKS2_PKT4_S2_PKT5_llS5_PT6_ll16rocsparse_order_21rocsparse_index_base_b, .Lfunc_end8-_ZN9rocsparseL31bsrmm_large_blockdim_kernel_extILj8ELj8ELj2EllffffEEvb20rocsparse_direction_T3_S2_llNS_24const_host_device_scalarIT7_EEPKT2_PKS2_PKT4_S2_PKT5_llS5_PT6_ll16rocsparse_order_21rocsparse_index_base_b
                                        ; -- End function
	.set _ZN9rocsparseL31bsrmm_large_blockdim_kernel_extILj8ELj8ELj2EllffffEEvb20rocsparse_direction_T3_S2_llNS_24const_host_device_scalarIT7_EEPKT2_PKS2_PKT4_S2_PKT5_llS5_PT6_ll16rocsparse_order_21rocsparse_index_base_b.num_vgpr, 30
	.set _ZN9rocsparseL31bsrmm_large_blockdim_kernel_extILj8ELj8ELj2EllffffEEvb20rocsparse_direction_T3_S2_llNS_24const_host_device_scalarIT7_EEPKT2_PKS2_PKT4_S2_PKT5_llS5_PT6_ll16rocsparse_order_21rocsparse_index_base_b.num_agpr, 0
	.set _ZN9rocsparseL31bsrmm_large_blockdim_kernel_extILj8ELj8ELj2EllffffEEvb20rocsparse_direction_T3_S2_llNS_24const_host_device_scalarIT7_EEPKT2_PKS2_PKT4_S2_PKT5_llS5_PT6_ll16rocsparse_order_21rocsparse_index_base_b.numbered_sgpr, 40
	.set _ZN9rocsparseL31bsrmm_large_blockdim_kernel_extILj8ELj8ELj2EllffffEEvb20rocsparse_direction_T3_S2_llNS_24const_host_device_scalarIT7_EEPKT2_PKS2_PKT4_S2_PKT5_llS5_PT6_ll16rocsparse_order_21rocsparse_index_base_b.num_named_barrier, 0
	.set _ZN9rocsparseL31bsrmm_large_blockdim_kernel_extILj8ELj8ELj2EllffffEEvb20rocsparse_direction_T3_S2_llNS_24const_host_device_scalarIT7_EEPKT2_PKS2_PKT4_S2_PKT5_llS5_PT6_ll16rocsparse_order_21rocsparse_index_base_b.private_seg_size, 0
	.set _ZN9rocsparseL31bsrmm_large_blockdim_kernel_extILj8ELj8ELj2EllffffEEvb20rocsparse_direction_T3_S2_llNS_24const_host_device_scalarIT7_EEPKT2_PKS2_PKT4_S2_PKT5_llS5_PT6_ll16rocsparse_order_21rocsparse_index_base_b.uses_vcc, 1
	.set _ZN9rocsparseL31bsrmm_large_blockdim_kernel_extILj8ELj8ELj2EllffffEEvb20rocsparse_direction_T3_S2_llNS_24const_host_device_scalarIT7_EEPKT2_PKS2_PKT4_S2_PKT5_llS5_PT6_ll16rocsparse_order_21rocsparse_index_base_b.uses_flat_scratch, 0
	.set _ZN9rocsparseL31bsrmm_large_blockdim_kernel_extILj8ELj8ELj2EllffffEEvb20rocsparse_direction_T3_S2_llNS_24const_host_device_scalarIT7_EEPKT2_PKS2_PKT4_S2_PKT5_llS5_PT6_ll16rocsparse_order_21rocsparse_index_base_b.has_dyn_sized_stack, 0
	.set _ZN9rocsparseL31bsrmm_large_blockdim_kernel_extILj8ELj8ELj2EllffffEEvb20rocsparse_direction_T3_S2_llNS_24const_host_device_scalarIT7_EEPKT2_PKS2_PKT4_S2_PKT5_llS5_PT6_ll16rocsparse_order_21rocsparse_index_base_b.has_recursion, 0
	.set _ZN9rocsparseL31bsrmm_large_blockdim_kernel_extILj8ELj8ELj2EllffffEEvb20rocsparse_direction_T3_S2_llNS_24const_host_device_scalarIT7_EEPKT2_PKS2_PKT4_S2_PKT5_llS5_PT6_ll16rocsparse_order_21rocsparse_index_base_b.has_indirect_call, 0
	.section	.AMDGPU.csdata,"",@progbits
; Kernel info:
; codeLenInByte = 1736
; TotalNumSgprs: 42
; NumVgprs: 30
; ScratchSize: 0
; MemoryBound: 0
; FloatMode: 240
; IeeeMode: 1
; LDSByteSize: 768 bytes/workgroup (compile time only)
; SGPRBlocks: 0
; VGPRBlocks: 1
; NumSGPRsForWavesPerEU: 42
; NumVGPRsForWavesPerEU: 30
; NamedBarCnt: 0
; Occupancy: 16
; WaveLimiterHint : 1
; COMPUTE_PGM_RSRC2:SCRATCH_EN: 0
; COMPUTE_PGM_RSRC2:USER_SGPR: 2
; COMPUTE_PGM_RSRC2:TRAP_HANDLER: 0
; COMPUTE_PGM_RSRC2:TGID_X_EN: 1
; COMPUTE_PGM_RSRC2:TGID_Y_EN: 1
; COMPUTE_PGM_RSRC2:TGID_Z_EN: 0
; COMPUTE_PGM_RSRC2:TIDIG_COMP_CNT: 1
	.section	.text._ZN9rocsparseL31bsrmm_large_blockdim_kernel_extILj4ELj16ELj2EllffffEEvb20rocsparse_direction_T3_S2_llNS_24const_host_device_scalarIT7_EEPKT2_PKS2_PKT4_S2_PKT5_llS5_PT6_ll16rocsparse_order_21rocsparse_index_base_b,"axG",@progbits,_ZN9rocsparseL31bsrmm_large_blockdim_kernel_extILj4ELj16ELj2EllffffEEvb20rocsparse_direction_T3_S2_llNS_24const_host_device_scalarIT7_EEPKT2_PKS2_PKT4_S2_PKT5_llS5_PT6_ll16rocsparse_order_21rocsparse_index_base_b,comdat
	.globl	_ZN9rocsparseL31bsrmm_large_blockdim_kernel_extILj4ELj16ELj2EllffffEEvb20rocsparse_direction_T3_S2_llNS_24const_host_device_scalarIT7_EEPKT2_PKS2_PKT4_S2_PKT5_llS5_PT6_ll16rocsparse_order_21rocsparse_index_base_b ; -- Begin function _ZN9rocsparseL31bsrmm_large_blockdim_kernel_extILj4ELj16ELj2EllffffEEvb20rocsparse_direction_T3_S2_llNS_24const_host_device_scalarIT7_EEPKT2_PKS2_PKT4_S2_PKT5_llS5_PT6_ll16rocsparse_order_21rocsparse_index_base_b
	.p2align	8
	.type	_ZN9rocsparseL31bsrmm_large_blockdim_kernel_extILj4ELj16ELj2EllffffEEvb20rocsparse_direction_T3_S2_llNS_24const_host_device_scalarIT7_EEPKT2_PKS2_PKT4_S2_PKT5_llS5_PT6_ll16rocsparse_order_21rocsparse_index_base_b,@function
_ZN9rocsparseL31bsrmm_large_blockdim_kernel_extILj4ELj16ELj2EllffffEEvb20rocsparse_direction_T3_S2_llNS_24const_host_device_scalarIT7_EEPKT2_PKS2_PKT4_S2_PKT5_llS5_PT6_ll16rocsparse_order_21rocsparse_index_base_b: ; @_ZN9rocsparseL31bsrmm_large_blockdim_kernel_extILj4ELj16ELj2EllffffEEvb20rocsparse_direction_T3_S2_llNS_24const_host_device_scalarIT7_EEPKT2_PKS2_PKT4_S2_PKT5_llS5_PT6_ll16rocsparse_order_21rocsparse_index_base_b
; %bb.0:
	s_clause 0x2
	s_load_b96 s[16:18], s[0:1], 0x88
	s_load_b64 s[20:21], s[0:1], 0x28
	s_load_b64 s[22:23], s[0:1], 0x68
	s_wait_kmcnt 0x0
	s_bitcmp1_b32 s18, 0
	s_cselect_b32 s2, -1, 0
	s_delay_alu instid0(SALU_CYCLE_1)
	s_and_b32 vcc_lo, exec_lo, s2
	s_xor_b32 s2, s2, -1
	s_cbranch_vccnz .LBB9_2
; %bb.1:
	s_load_b32 s20, s[20:21], 0x0
.LBB9_2:
	s_and_not1_b32 vcc_lo, exec_lo, s2
	s_cbranch_vccnz .LBB9_4
; %bb.3:
	s_load_b32 s22, s[22:23], 0x0
.LBB9_4:
	s_wait_kmcnt 0x0
	s_cmp_eq_f32 s20, 0
	s_cselect_b32 s2, -1, 0
	s_cmp_eq_f32 s22, 1.0
	s_cselect_b32 s3, -1, 0
	s_delay_alu instid0(SALU_CYCLE_1) | instskip(NEXT) | instid1(SALU_CYCLE_1)
	s_and_b32 s2, s2, s3
	s_and_b32 vcc_lo, exec_lo, s2
	s_cbranch_vccnz .LBB9_48
; %bb.5:
	s_clause 0x1
	s_load_b128 s[4:7], s[0:1], 0x8
	s_load_b64 s[2:3], s[0:1], 0x30
	s_bfe_u32 s8, ttmp6, 0x4000c
	s_and_b32 s9, ttmp6, 15
	s_add_co_i32 s8, s8, 1
	s_mov_b64 s[24:25], 0
	s_mul_i32 s10, ttmp9, s8
	s_getreg_b32 s8, hwreg(HW_REG_IB_STS2, 6, 4)
	s_add_co_i32 s9, s9, s10
	s_cmp_eq_u32 s8, 0
	s_mov_b64 s[26:27], 0
	s_cselect_b32 s18, ttmp9, s9
	s_delay_alu instid0(SALU_CYCLE_1)
	s_ashr_i32 s19, s18, 31
	s_wait_kmcnt 0x0
	v_cmp_le_i64_e64 s9, s[4:5], s[18:19]
	v_cmp_gt_i64_e64 s21, s[4:5], s[18:19]
	s_and_b32 vcc_lo, exec_lo, s9
	s_cbranch_vccnz .LBB9_7
; %bb.6:
	s_lshl_b64 s[4:5], s[18:19], 3
	s_mov_b32 s11, 0
	s_add_nc_u64 s[4:5], s[2:3], s[4:5]
	s_mov_b32 s10, s17
	s_load_b64 s[4:5], s[4:5], 0x0
	s_wait_kmcnt 0x0
	s_sub_nc_u64 s[26:27], s[4:5], s[10:11]
.LBB9_7:
	s_and_not1_b32 vcc_lo, exec_lo, s21
	s_cbranch_vccnz .LBB9_9
; %bb.8:
	s_lshl_b64 s[4:5], s[18:19], 3
	s_delay_alu instid0(SALU_CYCLE_1)
	s_add_nc_u64 s[2:3], s[2:3], s[4:5]
	s_mov_b32 s5, 0
	s_load_b64 s[2:3], s[2:3], 0x8
	s_mov_b32 s4, s17
	s_wait_kmcnt 0x0
	s_sub_nc_u64 s[24:25], s[2:3], s[4:5]
.LBB9_9:
	s_bfe_u32 s2, ttmp6, 0x40010
	s_clause 0x1
	s_load_b64 s[28:29], s[0:1], 0x48
	s_load_b64 s[30:31], s[0:1], 0x70
	s_add_co_i32 s2, s2, 1
	s_bfe_u32 s3, ttmp6, 0x40004
	s_mul_i32 s2, ttmp7, s2
	v_bfe_u32 v4, v0, 10, 10
	s_add_co_i32 s3, s3, s2
	s_cmp_eq_u32 s8, 0
	v_and_b32_e32 v6, 0x3ff, v0
	s_cselect_b32 s2, ttmp7, s3
	v_cmp_ge_i64_e64 s5, s[26:27], s[24:25]
	v_lshl_add_u32 v2, s2, 5, v4
	v_mov_b32_e32 v3, 0
	s_mov_b32 s35, 0
	s_delay_alu instid0(VALU_DEP_1)
	v_dual_mov_b32 v7, v3 :: v_dual_add_nc_u32 v0, 16, v2
	v_mov_b32_e32 v1, v3
	v_cmp_gt_i64_e64 s3, s[6:7], v[2:3]
	s_and_b32 vcc_lo, exec_lo, s5
	s_wait_kmcnt 0x0
	v_cmp_gt_i64_e64 s2, s[28:29], v[6:7]
	v_cmp_gt_i64_e64 s4, s[6:7], v[0:1]
	s_cbranch_vccnz .LBB9_27
; %bb.10:
	v_dual_mov_b32 v5, v3 :: v_dual_lshlrev_b32 v16, 2, v4
	s_load_b128 s[8:11], s[0:1], 0x50
	v_mul_u64_e32 v[12:13], s[28:29], v[6:7]
	s_clause 0x1
	s_load_b128 s[12:15], s[0:1], 0x38
	s_load_b64 s[38:39], s[0:1], 0x0
	v_mul_u64_e32 v[14:15], s[28:29], v[4:5]
	v_cmp_gt_i64_e32 vcc_lo, s[28:29], v[4:5]
	v_dual_mov_b32 v19, v3 :: v_dual_lshlrev_b32 v18, 2, v6
	v_dual_lshlrev_b32 v20, 4, v4 :: v_dual_lshlrev_b32 v24, 4, v6
	v_mov_b32_e32 v17, v3
	v_cmp_gt_i64_e64 s23, s[28:29], 0
	s_and_b32 s19, s2, vcc_lo
	v_add_nc_u32_e32 v22, 0x100, v20
	v_mov_b64_e32 v[4:5], 0
	v_add_nc_u32_e32 v21, 0x200, v24
	s_mul_u64 s[36:37], s[28:29], s[28:29]
	s_mov_b32 s34, s17
	s_wait_kmcnt 0x0
	v_mul_u64_e32 v[8:9], s[10:11], v[2:3]
	v_mul_u64_e32 v[10:11], s[10:11], v[0:1]
	s_bitcmp1_b32 s38, 0
	s_cselect_b32 s5, -1, 0
	s_cmp_eq_u32 s39, 0
	s_cselect_b32 vcc_lo, -1, 0
	s_and_b32 s17, s3, s23
	s_and_b32 s23, s4, s23
	v_lshl_add_u64 v[12:13], v[12:13], 2, s[14:15]
	v_lshl_add_u64 v[14:15], v[14:15], 2, s[14:15]
	s_delay_alu instid0(VALU_DEP_1) | instskip(SKIP_1) | instid1(VALU_DEP_4)
	v_add_nc_u64_e32 v[14:15], v[14:15], v[18:19]
	v_add_nc_u32_e32 v25, 0x200, v16
	v_add_nc_u64_e32 v[16:17], v[12:13], v[16:17]
	v_add_nc_u64_e32 v[12:13], s[8:9], v[18:19]
	s_delay_alu instid0(VALU_DEP_2) | instskip(NEXT) | instid1(VALU_DEP_3)
	v_dual_add_nc_u32 v23, v18, v20 :: v_dual_cndmask_b32 v15, v15, v17, vcc_lo
	v_cndmask_b32_e32 v14, v14, v16, vcc_lo
	v_add_nc_u32_e32 v24, v25, v24
	s_branch .LBB9_13
.LBB9_11:                               ;   in Loop: Header=BB9_13 Depth=1
	s_or_b32 exec_lo, exec_lo, s38
.LBB9_12:                               ;   in Loop: Header=BB9_13 Depth=1
	s_delay_alu instid0(SALU_CYCLE_1) | instskip(SKIP_1) | instid1(SALU_CYCLE_1)
	s_or_b32 exec_lo, exec_lo, s33
	s_add_nc_u64 s[26:27], s[26:27], 1
	v_cmp_ge_i64_e64 s14, s[26:27], s[24:25]
	s_barrier_signal -1
	s_barrier_wait -1
	s_and_b32 vcc_lo, exec_lo, s14
	s_cbranch_vccnz .LBB9_28
.LBB9_13:                               ; =>This Loop Header: Depth=1
                                        ;     Child Loop BB9_23 Depth 2
                                        ;     Child Loop BB9_26 Depth 2
	s_and_saveexec_b32 s14, s2
	s_cbranch_execz .LBB9_18
; %bb.14:                               ;   in Loop: Header=BB9_13 Depth=1
	s_lshl_b64 s[38:39], s[26:27], 3
	s_delay_alu instid0(SALU_CYCLE_1) | instskip(SKIP_3) | instid1(SALU_CYCLE_1)
	s_add_nc_u64 s[38:39], s[12:13], s[38:39]
	s_load_b64 s[38:39], s[38:39], 0x0
	s_wait_kmcnt 0x0
	s_sub_nc_u64 s[38:39], s[38:39], s[34:35]
	s_mul_u64 s[38:39], s[38:39], s[28:29]
	s_delay_alu instid0(SALU_CYCLE_1) | instskip(SKIP_1) | instid1(VALU_DEP_2)
	v_add_nc_u64_e32 v[16:17], s[38:39], v[6:7]
	v_lshl_add_u64 v[18:19], s[38:39], 2, v[12:13]
	v_mul_u64_e32 v[16:17], s[10:11], v[16:17]
	s_delay_alu instid0(VALU_DEP_1)
	v_lshl_add_u64 v[16:17], v[16:17], 2, s[8:9]
	s_and_saveexec_b32 s15, s3
	s_cbranch_execz .LBB9_16
; %bb.15:                               ;   in Loop: Header=BB9_13 Depth=1
	s_delay_alu instid0(VALU_DEP_1) | instskip(SKIP_1) | instid1(VALU_DEP_1)
	v_lshl_add_u64 v[26:27], v[2:3], 2, v[16:17]
	v_lshl_add_u64 v[28:29], v[8:9], 2, v[18:19]
	v_dual_cndmask_b32 v27, v27, v29, s5 :: v_dual_cndmask_b32 v26, v26, v28, s5
	global_load_b32 v25, v[26:27], off
	s_wait_loadcnt 0x0
	ds_store_b32 v23, v25
.LBB9_16:                               ;   in Loop: Header=BB9_13 Depth=1
	s_or_b32 exec_lo, exec_lo, s15
	s_delay_alu instid0(SALU_CYCLE_1)
	s_and_b32 exec_lo, exec_lo, s4
	s_cbranch_execz .LBB9_18
; %bb.17:                               ;   in Loop: Header=BB9_13 Depth=1
	v_lshl_add_u64 v[18:19], v[10:11], 2, v[18:19]
	v_lshl_add_u64 v[16:17], v[0:1], 2, v[16:17]
	s_delay_alu instid0(VALU_DEP_1)
	v_dual_cndmask_b32 v17, v17, v19, s5 :: v_dual_cndmask_b32 v16, v16, v18, s5
	global_load_b32 v16, v[16:17], off
	s_wait_loadcnt 0x0
	ds_store_b32 v23, v16 offset:256
.LBB9_18:                               ;   in Loop: Header=BB9_13 Depth=1
	s_or_b32 exec_lo, exec_lo, s14
	s_and_saveexec_b32 s14, s19
	s_cbranch_execz .LBB9_20
; %bb.19:                               ;   in Loop: Header=BB9_13 Depth=1
	s_mul_u64 s[38:39], s[36:37], s[26:27]
	s_delay_alu instid0(SALU_CYCLE_1)
	v_lshl_add_u64 v[16:17], s[38:39], 2, v[14:15]
	global_load_b32 v16, v[16:17], off
	s_wait_loadcnt 0x0
	ds_store_b32 v24, v16
.LBB9_20:                               ;   in Loop: Header=BB9_13 Depth=1
	s_or_b32 exec_lo, exec_lo, s14
	s_wait_dscnt 0x0
	s_barrier_signal -1
	s_barrier_wait -1
	s_and_saveexec_b32 s33, s2
	s_cbranch_execz .LBB9_12
; %bb.21:                               ;   in Loop: Header=BB9_13 Depth=1
	s_and_saveexec_b32 s38, s17
	s_cbranch_execz .LBB9_24
; %bb.22:                               ;   in Loop: Header=BB9_13 Depth=1
	v_dual_mov_b32 v16, v21 :: v_dual_mov_b32 v17, v20
	s_mov_b64 s[14:15], s[28:29]
.LBB9_23:                               ;   Parent Loop BB9_13 Depth=1
                                        ; =>  This Inner Loop Header: Depth=2
	ds_load_b32 v18, v16
	ds_load_b32 v19, v17
	v_dual_add_nc_u32 v17, 4, v17 :: v_dual_add_nc_u32 v16, 4, v16
	s_add_nc_u64 s[14:15], s[14:15], -1
	s_delay_alu instid0(SALU_CYCLE_1)
	s_cmp_lg_u64 s[14:15], 0
	s_wait_dscnt 0x0
	v_fma_f32 v4, v18, v19, v4
	s_cbranch_scc1 .LBB9_23
.LBB9_24:                               ;   in Loop: Header=BB9_13 Depth=1
	s_or_b32 exec_lo, exec_lo, s38
	s_and_saveexec_b32 s38, s23
	s_cbranch_execz .LBB9_11
; %bb.25:                               ;   in Loop: Header=BB9_13 Depth=1
	v_dual_mov_b32 v16, v21 :: v_dual_mov_b32 v17, v22
	s_mov_b64 s[14:15], s[28:29]
.LBB9_26:                               ;   Parent Loop BB9_13 Depth=1
                                        ; =>  This Inner Loop Header: Depth=2
	ds_load_b32 v18, v16
	ds_load_b32 v19, v17
	v_dual_add_nc_u32 v17, 4, v17 :: v_dual_add_nc_u32 v16, 4, v16
	s_add_nc_u64 s[14:15], s[14:15], -1
	s_delay_alu instid0(SALU_CYCLE_1)
	s_cmp_lg_u64 s[14:15], 0
	s_wait_dscnt 0x0
	v_fma_f32 v5, v18, v19, v5
	s_cbranch_scc1 .LBB9_26
	s_branch .LBB9_11
.LBB9_27:
	v_mov_b64_e32 v[4:5], 0
.LBB9_28:
	s_and_b32 s2, s21, s2
	s_delay_alu instid0(SALU_CYCLE_1)
	s_and_saveexec_b32 s3, s2
	s_cbranch_execz .LBB9_48
; %bb.29:
	v_mad_nc_u64_u32 v[6:7], s28, s18, v[6:7]
	s_load_b64 s[2:3], s[0:1], 0x78
	s_cmp_neq_f32 s22, 0
	s_wait_xcnt 0x0
	s_mov_b32 s0, exec_lo
	s_cselect_b32 s4, -1, 0
	s_cmp_lg_u32 s16, 1
	s_cselect_b32 s1, -1, 0
	s_delay_alu instid0(VALU_DEP_1) | instskip(SKIP_1) | instid1(VALU_DEP_1)
	v_mad_u32 v7, s29, s18, v7
	s_wait_kmcnt 0x0
	v_mul_u64_e32 v[8:9], s[2:3], v[6:7]
	v_lshl_add_u64 v[6:7], v[6:7], 2, s[30:31]
	s_delay_alu instid0(VALU_DEP_2)
	v_lshl_add_u64 v[8:9], v[8:9], 2, s[30:31]
	v_cmpx_gt_i64_e64 s[6:7], v[2:3]
	s_cbranch_execz .LBB9_41
; %bb.30:
	s_and_b32 vcc_lo, exec_lo, s4
	s_cbranch_vccz .LBB9_36
; %bb.31:
	s_and_b32 vcc_lo, exec_lo, s1
	s_mov_b32 s5, -1
	s_cbranch_vccz .LBB9_33
; %bb.32:
	v_lshl_add_u64 v[10:11], v[2:3], 2, v[8:9]
	v_mul_f32_e32 v13, s20, v4
	s_mov_b32 s5, 0
	global_load_b32 v12, v[10:11], off
	s_wait_loadcnt 0x0
	v_fmac_f32_e32 v13, s22, v12
	global_store_b32 v[10:11], v13, off
.LBB9_33:
	s_and_not1_b32 vcc_lo, exec_lo, s5
	s_cbranch_vccnz .LBB9_35
; %bb.34:
	s_wait_xcnt 0x0
	v_mul_u64_e32 v[10:11], s[2:3], v[2:3]
	v_mul_f32_e32 v13, s20, v4
	s_delay_alu instid0(VALU_DEP_2)
	v_lshl_add_u64 v[10:11], v[10:11], 2, v[6:7]
	global_load_b32 v12, v[10:11], off
	s_wait_loadcnt 0x0
	v_fmac_f32_e32 v13, s22, v12
	global_store_b32 v[10:11], v13, off
.LBB9_35:
	s_cbranch_execz .LBB9_37
	s_branch .LBB9_41
.LBB9_36:
.LBB9_37:
	v_mul_f32_e32 v4, s20, v4
	s_and_b32 vcc_lo, exec_lo, s1
	s_mov_b32 s5, -1
	s_cbranch_vccz .LBB9_39
; %bb.38:
	s_wait_xcnt 0x0
	v_lshl_add_u64 v[10:11], v[2:3], 2, v[8:9]
	s_mov_b32 s5, 0
	global_store_b32 v[10:11], v4, off
.LBB9_39:
	s_and_not1_b32 vcc_lo, exec_lo, s5
	s_cbranch_vccnz .LBB9_41
; %bb.40:
	v_mul_u64_e32 v[2:3], s[2:3], v[2:3]
	s_delay_alu instid0(VALU_DEP_1)
	v_lshl_add_u64 v[2:3], v[2:3], 2, v[6:7]
	global_store_b32 v[2:3], v4, off
.LBB9_41:
	s_wait_xcnt 0x0
	s_or_b32 exec_lo, exec_lo, s0
	v_cmp_gt_i64_e32 vcc_lo, s[6:7], v[0:1]
	s_and_b32 exec_lo, exec_lo, vcc_lo
	s_cbranch_execz .LBB9_48
; %bb.42:
	v_cndmask_b32_e64 v2, 0, 1, s1
	s_and_not1_b32 vcc_lo, exec_lo, s4
	s_delay_alu instid0(VALU_DEP_1)
	v_cmp_ne_u32_e64 s0, 1, v2
	s_cbranch_vccnz .LBB9_49
; %bb.43:
	s_and_b32 vcc_lo, exec_lo, s0
	s_mov_b32 s0, -1
	s_cbranch_vccnz .LBB9_45
; %bb.44:
	v_lshl_add_u64 v[2:3], v[0:1], 2, v[8:9]
	v_mul_f32_e32 v10, s20, v5
	s_mov_b32 s0, 0
	global_load_b32 v4, v[2:3], off
	s_wait_loadcnt 0x0
	v_fmac_f32_e32 v10, s22, v4
	global_store_b32 v[2:3], v10, off
.LBB9_45:
	s_and_not1_b32 vcc_lo, exec_lo, s0
	s_cbranch_vccnz .LBB9_47
; %bb.46:
	s_wait_xcnt 0x0
	v_mul_u64_e32 v[2:3], s[2:3], v[0:1]
	v_mul_f32_e32 v10, s20, v5
	s_delay_alu instid0(VALU_DEP_2)
	v_lshl_add_u64 v[2:3], v[2:3], 2, v[6:7]
	global_load_b32 v4, v[2:3], off
	s_wait_loadcnt 0x0
	v_fmac_f32_e32 v10, s22, v4
	global_store_b32 v[2:3], v10, off
.LBB9_47:
	s_cbranch_execz .LBB9_50
.LBB9_48:
	s_endpgm
.LBB9_49:
.LBB9_50:
	s_wait_xcnt 0x0
	v_mul_f32_e32 v2, s20, v5
	s_and_not1_b32 vcc_lo, exec_lo, s1
	s_mov_b32 s0, -1
	s_cbranch_vccnz .LBB9_52
; %bb.51:
	v_lshl_add_u64 v[4:5], v[0:1], 2, v[8:9]
	s_mov_b32 s0, 0
	global_store_b32 v[4:5], v2, off
.LBB9_52:
	s_and_not1_b32 vcc_lo, exec_lo, s0
	s_cbranch_vccnz .LBB9_48
; %bb.53:
	v_mul_u64_e32 v[0:1], s[2:3], v[0:1]
	s_delay_alu instid0(VALU_DEP_1)
	v_lshl_add_u64 v[0:1], v[0:1], 2, v[6:7]
	global_store_b32 v[0:1], v2, off
	s_endpgm
	.section	.rodata,"a",@progbits
	.p2align	6, 0x0
	.amdhsa_kernel _ZN9rocsparseL31bsrmm_large_blockdim_kernel_extILj4ELj16ELj2EllffffEEvb20rocsparse_direction_T3_S2_llNS_24const_host_device_scalarIT7_EEPKT2_PKS2_PKT4_S2_PKT5_llS5_PT6_ll16rocsparse_order_21rocsparse_index_base_b
		.amdhsa_group_segment_fixed_size 576
		.amdhsa_private_segment_fixed_size 0
		.amdhsa_kernarg_size 148
		.amdhsa_user_sgpr_count 2
		.amdhsa_user_sgpr_dispatch_ptr 0
		.amdhsa_user_sgpr_queue_ptr 0
		.amdhsa_user_sgpr_kernarg_segment_ptr 1
		.amdhsa_user_sgpr_dispatch_id 0
		.amdhsa_user_sgpr_kernarg_preload_length 0
		.amdhsa_user_sgpr_kernarg_preload_offset 0
		.amdhsa_user_sgpr_private_segment_size 0
		.amdhsa_wavefront_size32 1
		.amdhsa_uses_dynamic_stack 0
		.amdhsa_enable_private_segment 0
		.amdhsa_system_sgpr_workgroup_id_x 1
		.amdhsa_system_sgpr_workgroup_id_y 1
		.amdhsa_system_sgpr_workgroup_id_z 0
		.amdhsa_system_sgpr_workgroup_info 0
		.amdhsa_system_vgpr_workitem_id 1
		.amdhsa_next_free_vgpr 30
		.amdhsa_next_free_sgpr 40
		.amdhsa_named_barrier_count 0
		.amdhsa_reserve_vcc 1
		.amdhsa_float_round_mode_32 0
		.amdhsa_float_round_mode_16_64 0
		.amdhsa_float_denorm_mode_32 3
		.amdhsa_float_denorm_mode_16_64 3
		.amdhsa_fp16_overflow 0
		.amdhsa_memory_ordered 1
		.amdhsa_forward_progress 1
		.amdhsa_inst_pref_size 14
		.amdhsa_round_robin_scheduling 0
		.amdhsa_exception_fp_ieee_invalid_op 0
		.amdhsa_exception_fp_denorm_src 0
		.amdhsa_exception_fp_ieee_div_zero 0
		.amdhsa_exception_fp_ieee_overflow 0
		.amdhsa_exception_fp_ieee_underflow 0
		.amdhsa_exception_fp_ieee_inexact 0
		.amdhsa_exception_int_div_zero 0
	.end_amdhsa_kernel
	.section	.text._ZN9rocsparseL31bsrmm_large_blockdim_kernel_extILj4ELj16ELj2EllffffEEvb20rocsparse_direction_T3_S2_llNS_24const_host_device_scalarIT7_EEPKT2_PKS2_PKT4_S2_PKT5_llS5_PT6_ll16rocsparse_order_21rocsparse_index_base_b,"axG",@progbits,_ZN9rocsparseL31bsrmm_large_blockdim_kernel_extILj4ELj16ELj2EllffffEEvb20rocsparse_direction_T3_S2_llNS_24const_host_device_scalarIT7_EEPKT2_PKS2_PKT4_S2_PKT5_llS5_PT6_ll16rocsparse_order_21rocsparse_index_base_b,comdat
.Lfunc_end9:
	.size	_ZN9rocsparseL31bsrmm_large_blockdim_kernel_extILj4ELj16ELj2EllffffEEvb20rocsparse_direction_T3_S2_llNS_24const_host_device_scalarIT7_EEPKT2_PKS2_PKT4_S2_PKT5_llS5_PT6_ll16rocsparse_order_21rocsparse_index_base_b, .Lfunc_end9-_ZN9rocsparseL31bsrmm_large_blockdim_kernel_extILj4ELj16ELj2EllffffEEvb20rocsparse_direction_T3_S2_llNS_24const_host_device_scalarIT7_EEPKT2_PKS2_PKT4_S2_PKT5_llS5_PT6_ll16rocsparse_order_21rocsparse_index_base_b
                                        ; -- End function
	.set _ZN9rocsparseL31bsrmm_large_blockdim_kernel_extILj4ELj16ELj2EllffffEEvb20rocsparse_direction_T3_S2_llNS_24const_host_device_scalarIT7_EEPKT2_PKS2_PKT4_S2_PKT5_llS5_PT6_ll16rocsparse_order_21rocsparse_index_base_b.num_vgpr, 30
	.set _ZN9rocsparseL31bsrmm_large_blockdim_kernel_extILj4ELj16ELj2EllffffEEvb20rocsparse_direction_T3_S2_llNS_24const_host_device_scalarIT7_EEPKT2_PKS2_PKT4_S2_PKT5_llS5_PT6_ll16rocsparse_order_21rocsparse_index_base_b.num_agpr, 0
	.set _ZN9rocsparseL31bsrmm_large_blockdim_kernel_extILj4ELj16ELj2EllffffEEvb20rocsparse_direction_T3_S2_llNS_24const_host_device_scalarIT7_EEPKT2_PKS2_PKT4_S2_PKT5_llS5_PT6_ll16rocsparse_order_21rocsparse_index_base_b.numbered_sgpr, 40
	.set _ZN9rocsparseL31bsrmm_large_blockdim_kernel_extILj4ELj16ELj2EllffffEEvb20rocsparse_direction_T3_S2_llNS_24const_host_device_scalarIT7_EEPKT2_PKS2_PKT4_S2_PKT5_llS5_PT6_ll16rocsparse_order_21rocsparse_index_base_b.num_named_barrier, 0
	.set _ZN9rocsparseL31bsrmm_large_blockdim_kernel_extILj4ELj16ELj2EllffffEEvb20rocsparse_direction_T3_S2_llNS_24const_host_device_scalarIT7_EEPKT2_PKS2_PKT4_S2_PKT5_llS5_PT6_ll16rocsparse_order_21rocsparse_index_base_b.private_seg_size, 0
	.set _ZN9rocsparseL31bsrmm_large_blockdim_kernel_extILj4ELj16ELj2EllffffEEvb20rocsparse_direction_T3_S2_llNS_24const_host_device_scalarIT7_EEPKT2_PKS2_PKT4_S2_PKT5_llS5_PT6_ll16rocsparse_order_21rocsparse_index_base_b.uses_vcc, 1
	.set _ZN9rocsparseL31bsrmm_large_blockdim_kernel_extILj4ELj16ELj2EllffffEEvb20rocsparse_direction_T3_S2_llNS_24const_host_device_scalarIT7_EEPKT2_PKS2_PKT4_S2_PKT5_llS5_PT6_ll16rocsparse_order_21rocsparse_index_base_b.uses_flat_scratch, 0
	.set _ZN9rocsparseL31bsrmm_large_blockdim_kernel_extILj4ELj16ELj2EllffffEEvb20rocsparse_direction_T3_S2_llNS_24const_host_device_scalarIT7_EEPKT2_PKS2_PKT4_S2_PKT5_llS5_PT6_ll16rocsparse_order_21rocsparse_index_base_b.has_dyn_sized_stack, 0
	.set _ZN9rocsparseL31bsrmm_large_blockdim_kernel_extILj4ELj16ELj2EllffffEEvb20rocsparse_direction_T3_S2_llNS_24const_host_device_scalarIT7_EEPKT2_PKS2_PKT4_S2_PKT5_llS5_PT6_ll16rocsparse_order_21rocsparse_index_base_b.has_recursion, 0
	.set _ZN9rocsparseL31bsrmm_large_blockdim_kernel_extILj4ELj16ELj2EllffffEEvb20rocsparse_direction_T3_S2_llNS_24const_host_device_scalarIT7_EEPKT2_PKS2_PKT4_S2_PKT5_llS5_PT6_ll16rocsparse_order_21rocsparse_index_base_b.has_indirect_call, 0
	.section	.AMDGPU.csdata,"",@progbits
; Kernel info:
; codeLenInByte = 1736
; TotalNumSgprs: 42
; NumVgprs: 30
; ScratchSize: 0
; MemoryBound: 0
; FloatMode: 240
; IeeeMode: 1
; LDSByteSize: 576 bytes/workgroup (compile time only)
; SGPRBlocks: 0
; VGPRBlocks: 1
; NumSGPRsForWavesPerEU: 42
; NumVGPRsForWavesPerEU: 30
; NamedBarCnt: 0
; Occupancy: 16
; WaveLimiterHint : 1
; COMPUTE_PGM_RSRC2:SCRATCH_EN: 0
; COMPUTE_PGM_RSRC2:USER_SGPR: 2
; COMPUTE_PGM_RSRC2:TRAP_HANDLER: 0
; COMPUTE_PGM_RSRC2:TGID_X_EN: 1
; COMPUTE_PGM_RSRC2:TGID_Y_EN: 1
; COMPUTE_PGM_RSRC2:TGID_Z_EN: 0
; COMPUTE_PGM_RSRC2:TIDIG_COMP_CNT: 1
	.section	.text._ZN9rocsparseL31bsrmm_large_blockdim_kernel_extILj16ELj16ELj2EllffffEEvb20rocsparse_direction_T3_S2_llNS_24const_host_device_scalarIT7_EEPKT2_PKS2_PKT4_S2_PKT5_llS5_PT6_ll16rocsparse_order_21rocsparse_index_base_b,"axG",@progbits,_ZN9rocsparseL31bsrmm_large_blockdim_kernel_extILj16ELj16ELj2EllffffEEvb20rocsparse_direction_T3_S2_llNS_24const_host_device_scalarIT7_EEPKT2_PKS2_PKT4_S2_PKT5_llS5_PT6_ll16rocsparse_order_21rocsparse_index_base_b,comdat
	.globl	_ZN9rocsparseL31bsrmm_large_blockdim_kernel_extILj16ELj16ELj2EllffffEEvb20rocsparse_direction_T3_S2_llNS_24const_host_device_scalarIT7_EEPKT2_PKS2_PKT4_S2_PKT5_llS5_PT6_ll16rocsparse_order_21rocsparse_index_base_b ; -- Begin function _ZN9rocsparseL31bsrmm_large_blockdim_kernel_extILj16ELj16ELj2EllffffEEvb20rocsparse_direction_T3_S2_llNS_24const_host_device_scalarIT7_EEPKT2_PKS2_PKT4_S2_PKT5_llS5_PT6_ll16rocsparse_order_21rocsparse_index_base_b
	.p2align	8
	.type	_ZN9rocsparseL31bsrmm_large_blockdim_kernel_extILj16ELj16ELj2EllffffEEvb20rocsparse_direction_T3_S2_llNS_24const_host_device_scalarIT7_EEPKT2_PKS2_PKT4_S2_PKT5_llS5_PT6_ll16rocsparse_order_21rocsparse_index_base_b,@function
_ZN9rocsparseL31bsrmm_large_blockdim_kernel_extILj16ELj16ELj2EllffffEEvb20rocsparse_direction_T3_S2_llNS_24const_host_device_scalarIT7_EEPKT2_PKS2_PKT4_S2_PKT5_llS5_PT6_ll16rocsparse_order_21rocsparse_index_base_b: ; @_ZN9rocsparseL31bsrmm_large_blockdim_kernel_extILj16ELj16ELj2EllffffEEvb20rocsparse_direction_T3_S2_llNS_24const_host_device_scalarIT7_EEPKT2_PKS2_PKT4_S2_PKT5_llS5_PT6_ll16rocsparse_order_21rocsparse_index_base_b
; %bb.0:
	s_clause 0x2
	s_load_b96 s[16:18], s[0:1], 0x88
	s_load_b64 s[20:21], s[0:1], 0x28
	s_load_b64 s[22:23], s[0:1], 0x68
	s_wait_kmcnt 0x0
	s_bitcmp1_b32 s18, 0
	s_cselect_b32 s2, -1, 0
	s_delay_alu instid0(SALU_CYCLE_1)
	s_and_b32 vcc_lo, exec_lo, s2
	s_xor_b32 s2, s2, -1
	s_cbranch_vccnz .LBB10_2
; %bb.1:
	s_load_b32 s20, s[20:21], 0x0
.LBB10_2:
	s_and_not1_b32 vcc_lo, exec_lo, s2
	s_cbranch_vccnz .LBB10_4
; %bb.3:
	s_load_b32 s22, s[22:23], 0x0
.LBB10_4:
	s_wait_kmcnt 0x0
	s_cmp_eq_f32 s20, 0
	s_cselect_b32 s2, -1, 0
	s_cmp_eq_f32 s22, 1.0
	s_cselect_b32 s3, -1, 0
	s_delay_alu instid0(SALU_CYCLE_1) | instskip(NEXT) | instid1(SALU_CYCLE_1)
	s_and_b32 s2, s2, s3
	s_and_b32 vcc_lo, exec_lo, s2
	s_cbranch_vccnz .LBB10_48
; %bb.5:
	s_clause 0x1
	s_load_b128 s[4:7], s[0:1], 0x8
	s_load_b64 s[2:3], s[0:1], 0x30
	s_bfe_u32 s8, ttmp6, 0x4000c
	s_and_b32 s9, ttmp6, 15
	s_add_co_i32 s8, s8, 1
	s_mov_b64 s[24:25], 0
	s_mul_i32 s10, ttmp9, s8
	s_getreg_b32 s8, hwreg(HW_REG_IB_STS2, 6, 4)
	s_add_co_i32 s9, s9, s10
	s_cmp_eq_u32 s8, 0
	s_mov_b64 s[26:27], 0
	s_cselect_b32 s18, ttmp9, s9
	s_delay_alu instid0(SALU_CYCLE_1)
	s_ashr_i32 s19, s18, 31
	s_wait_kmcnt 0x0
	v_cmp_le_i64_e64 s9, s[4:5], s[18:19]
	v_cmp_gt_i64_e64 s21, s[4:5], s[18:19]
	s_and_b32 vcc_lo, exec_lo, s9
	s_cbranch_vccnz .LBB10_7
; %bb.6:
	s_lshl_b64 s[4:5], s[18:19], 3
	s_mov_b32 s11, 0
	s_add_nc_u64 s[4:5], s[2:3], s[4:5]
	s_mov_b32 s10, s17
	s_load_b64 s[4:5], s[4:5], 0x0
	s_wait_kmcnt 0x0
	s_sub_nc_u64 s[26:27], s[4:5], s[10:11]
.LBB10_7:
	s_and_not1_b32 vcc_lo, exec_lo, s21
	s_cbranch_vccnz .LBB10_9
; %bb.8:
	s_lshl_b64 s[4:5], s[18:19], 3
	s_delay_alu instid0(SALU_CYCLE_1)
	s_add_nc_u64 s[2:3], s[2:3], s[4:5]
	s_mov_b32 s5, 0
	s_load_b64 s[2:3], s[2:3], 0x8
	s_mov_b32 s4, s17
	s_wait_kmcnt 0x0
	s_sub_nc_u64 s[24:25], s[2:3], s[4:5]
.LBB10_9:
	s_bfe_u32 s2, ttmp6, 0x40010
	s_clause 0x1
	s_load_b64 s[28:29], s[0:1], 0x48
	s_load_b64 s[30:31], s[0:1], 0x70
	s_add_co_i32 s2, s2, 1
	s_bfe_u32 s3, ttmp6, 0x40004
	s_mul_i32 s2, ttmp7, s2
	v_bfe_u32 v4, v0, 10, 10
	s_add_co_i32 s3, s3, s2
	s_cmp_eq_u32 s8, 0
	v_and_b32_e32 v6, 0x3ff, v0
	s_cselect_b32 s2, ttmp7, s3
	v_cmp_ge_i64_e64 s5, s[26:27], s[24:25]
	v_lshl_add_u32 v2, s2, 5, v4
	v_mov_b32_e32 v3, 0
	s_mov_b32 s35, 0
	s_delay_alu instid0(VALU_DEP_1)
	v_dual_mov_b32 v7, v3 :: v_dual_add_nc_u32 v0, 16, v2
	v_mov_b32_e32 v1, v3
	v_cmp_gt_i64_e64 s3, s[6:7], v[2:3]
	s_and_b32 vcc_lo, exec_lo, s5
	s_wait_kmcnt 0x0
	v_cmp_gt_i64_e64 s2, s[28:29], v[6:7]
	v_cmp_gt_i64_e64 s4, s[6:7], v[0:1]
	s_cbranch_vccnz .LBB10_27
; %bb.10:
	v_dual_mov_b32 v5, v3 :: v_dual_lshlrev_b32 v16, 2, v4
	s_load_b128 s[8:11], s[0:1], 0x50
	v_mul_u64_e32 v[12:13], s[28:29], v[6:7]
	s_clause 0x1
	s_load_b128 s[12:15], s[0:1], 0x38
	s_load_b64 s[38:39], s[0:1], 0x0
	v_mul_u64_e32 v[14:15], s[28:29], v[4:5]
	v_cmp_gt_i64_e32 vcc_lo, s[28:29], v[4:5]
	v_dual_mov_b32 v19, v3 :: v_dual_lshlrev_b32 v18, 2, v6
	v_dual_lshlrev_b32 v20, 6, v4 :: v_dual_lshlrev_b32 v24, 6, v6
	v_mov_b32_e32 v17, v3
	v_cmp_gt_i64_e64 s23, s[28:29], 0
	s_and_b32 s19, s2, vcc_lo
	v_add_nc_u32_e32 v22, 0x400, v20
	v_mov_b64_e32 v[4:5], 0
	v_add_nc_u32_e32 v21, 0x800, v24
	s_mul_u64 s[36:37], s[28:29], s[28:29]
	s_mov_b32 s34, s17
	s_wait_kmcnt 0x0
	v_mul_u64_e32 v[8:9], s[10:11], v[2:3]
	v_mul_u64_e32 v[10:11], s[10:11], v[0:1]
	s_bitcmp1_b32 s38, 0
	s_cselect_b32 s5, -1, 0
	s_cmp_eq_u32 s39, 0
	s_cselect_b32 vcc_lo, -1, 0
	s_and_b32 s17, s3, s23
	s_and_b32 s23, s4, s23
	v_lshl_add_u64 v[12:13], v[12:13], 2, s[14:15]
	v_lshl_add_u64 v[14:15], v[14:15], 2, s[14:15]
	s_delay_alu instid0(VALU_DEP_1) | instskip(SKIP_1) | instid1(VALU_DEP_4)
	v_add_nc_u64_e32 v[14:15], v[14:15], v[18:19]
	v_add_nc_u32_e32 v25, 0x800, v16
	v_add_nc_u64_e32 v[16:17], v[12:13], v[16:17]
	v_add_nc_u64_e32 v[12:13], s[8:9], v[18:19]
	s_delay_alu instid0(VALU_DEP_2) | instskip(NEXT) | instid1(VALU_DEP_3)
	v_dual_add_nc_u32 v23, v18, v20 :: v_dual_cndmask_b32 v15, v15, v17, vcc_lo
	v_cndmask_b32_e32 v14, v14, v16, vcc_lo
	v_add_nc_u32_e32 v24, v25, v24
	s_branch .LBB10_13
.LBB10_11:                              ;   in Loop: Header=BB10_13 Depth=1
	s_or_b32 exec_lo, exec_lo, s38
.LBB10_12:                              ;   in Loop: Header=BB10_13 Depth=1
	s_delay_alu instid0(SALU_CYCLE_1) | instskip(SKIP_1) | instid1(SALU_CYCLE_1)
	s_or_b32 exec_lo, exec_lo, s33
	s_add_nc_u64 s[26:27], s[26:27], 1
	v_cmp_ge_i64_e64 s14, s[26:27], s[24:25]
	s_barrier_signal -1
	s_barrier_wait -1
	s_and_b32 vcc_lo, exec_lo, s14
	s_cbranch_vccnz .LBB10_28
.LBB10_13:                              ; =>This Loop Header: Depth=1
                                        ;     Child Loop BB10_23 Depth 2
                                        ;     Child Loop BB10_26 Depth 2
	s_and_saveexec_b32 s14, s2
	s_cbranch_execz .LBB10_18
; %bb.14:                               ;   in Loop: Header=BB10_13 Depth=1
	s_lshl_b64 s[38:39], s[26:27], 3
	s_delay_alu instid0(SALU_CYCLE_1) | instskip(SKIP_3) | instid1(SALU_CYCLE_1)
	s_add_nc_u64 s[38:39], s[12:13], s[38:39]
	s_load_b64 s[38:39], s[38:39], 0x0
	s_wait_kmcnt 0x0
	s_sub_nc_u64 s[38:39], s[38:39], s[34:35]
	s_mul_u64 s[38:39], s[38:39], s[28:29]
	s_delay_alu instid0(SALU_CYCLE_1) | instskip(SKIP_1) | instid1(VALU_DEP_2)
	v_add_nc_u64_e32 v[16:17], s[38:39], v[6:7]
	v_lshl_add_u64 v[18:19], s[38:39], 2, v[12:13]
	v_mul_u64_e32 v[16:17], s[10:11], v[16:17]
	s_delay_alu instid0(VALU_DEP_1)
	v_lshl_add_u64 v[16:17], v[16:17], 2, s[8:9]
	s_and_saveexec_b32 s15, s3
	s_cbranch_execz .LBB10_16
; %bb.15:                               ;   in Loop: Header=BB10_13 Depth=1
	s_delay_alu instid0(VALU_DEP_1) | instskip(SKIP_1) | instid1(VALU_DEP_1)
	v_lshl_add_u64 v[26:27], v[2:3], 2, v[16:17]
	v_lshl_add_u64 v[28:29], v[8:9], 2, v[18:19]
	v_dual_cndmask_b32 v27, v27, v29, s5 :: v_dual_cndmask_b32 v26, v26, v28, s5
	global_load_b32 v25, v[26:27], off
	s_wait_loadcnt 0x0
	ds_store_b32 v23, v25
.LBB10_16:                              ;   in Loop: Header=BB10_13 Depth=1
	s_or_b32 exec_lo, exec_lo, s15
	s_delay_alu instid0(SALU_CYCLE_1)
	s_and_b32 exec_lo, exec_lo, s4
	s_cbranch_execz .LBB10_18
; %bb.17:                               ;   in Loop: Header=BB10_13 Depth=1
	v_lshl_add_u64 v[18:19], v[10:11], 2, v[18:19]
	v_lshl_add_u64 v[16:17], v[0:1], 2, v[16:17]
	s_delay_alu instid0(VALU_DEP_1)
	v_dual_cndmask_b32 v17, v17, v19, s5 :: v_dual_cndmask_b32 v16, v16, v18, s5
	global_load_b32 v16, v[16:17], off
	s_wait_loadcnt 0x0
	ds_store_b32 v23, v16 offset:1024
.LBB10_18:                              ;   in Loop: Header=BB10_13 Depth=1
	s_or_b32 exec_lo, exec_lo, s14
	s_and_saveexec_b32 s14, s19
	s_cbranch_execz .LBB10_20
; %bb.19:                               ;   in Loop: Header=BB10_13 Depth=1
	s_mul_u64 s[38:39], s[36:37], s[26:27]
	s_delay_alu instid0(SALU_CYCLE_1)
	v_lshl_add_u64 v[16:17], s[38:39], 2, v[14:15]
	global_load_b32 v16, v[16:17], off
	s_wait_loadcnt 0x0
	ds_store_b32 v24, v16
.LBB10_20:                              ;   in Loop: Header=BB10_13 Depth=1
	s_or_b32 exec_lo, exec_lo, s14
	s_wait_dscnt 0x0
	s_barrier_signal -1
	s_barrier_wait -1
	s_and_saveexec_b32 s33, s2
	s_cbranch_execz .LBB10_12
; %bb.21:                               ;   in Loop: Header=BB10_13 Depth=1
	s_and_saveexec_b32 s38, s17
	s_cbranch_execz .LBB10_24
; %bb.22:                               ;   in Loop: Header=BB10_13 Depth=1
	v_dual_mov_b32 v16, v21 :: v_dual_mov_b32 v17, v20
	s_mov_b64 s[14:15], s[28:29]
.LBB10_23:                              ;   Parent Loop BB10_13 Depth=1
                                        ; =>  This Inner Loop Header: Depth=2
	ds_load_b32 v18, v16
	ds_load_b32 v19, v17
	v_dual_add_nc_u32 v17, 4, v17 :: v_dual_add_nc_u32 v16, 4, v16
	s_add_nc_u64 s[14:15], s[14:15], -1
	s_delay_alu instid0(SALU_CYCLE_1)
	s_cmp_lg_u64 s[14:15], 0
	s_wait_dscnt 0x0
	v_fma_f32 v4, v18, v19, v4
	s_cbranch_scc1 .LBB10_23
.LBB10_24:                              ;   in Loop: Header=BB10_13 Depth=1
	s_or_b32 exec_lo, exec_lo, s38
	s_and_saveexec_b32 s38, s23
	s_cbranch_execz .LBB10_11
; %bb.25:                               ;   in Loop: Header=BB10_13 Depth=1
	v_dual_mov_b32 v16, v21 :: v_dual_mov_b32 v17, v22
	s_mov_b64 s[14:15], s[28:29]
.LBB10_26:                              ;   Parent Loop BB10_13 Depth=1
                                        ; =>  This Inner Loop Header: Depth=2
	ds_load_b32 v18, v16
	ds_load_b32 v19, v17
	v_dual_add_nc_u32 v17, 4, v17 :: v_dual_add_nc_u32 v16, 4, v16
	s_add_nc_u64 s[14:15], s[14:15], -1
	s_delay_alu instid0(SALU_CYCLE_1)
	s_cmp_lg_u64 s[14:15], 0
	s_wait_dscnt 0x0
	v_fma_f32 v5, v18, v19, v5
	s_cbranch_scc1 .LBB10_26
	s_branch .LBB10_11
.LBB10_27:
	v_mov_b64_e32 v[4:5], 0
.LBB10_28:
	s_and_b32 s2, s21, s2
	s_delay_alu instid0(SALU_CYCLE_1)
	s_and_saveexec_b32 s3, s2
	s_cbranch_execz .LBB10_48
; %bb.29:
	v_mad_nc_u64_u32 v[6:7], s28, s18, v[6:7]
	s_load_b64 s[2:3], s[0:1], 0x78
	s_cmp_neq_f32 s22, 0
	s_wait_xcnt 0x0
	s_mov_b32 s0, exec_lo
	s_cselect_b32 s4, -1, 0
	s_cmp_lg_u32 s16, 1
	s_cselect_b32 s1, -1, 0
	s_delay_alu instid0(VALU_DEP_1) | instskip(SKIP_1) | instid1(VALU_DEP_1)
	v_mad_u32 v7, s29, s18, v7
	s_wait_kmcnt 0x0
	v_mul_u64_e32 v[8:9], s[2:3], v[6:7]
	v_lshl_add_u64 v[6:7], v[6:7], 2, s[30:31]
	s_delay_alu instid0(VALU_DEP_2)
	v_lshl_add_u64 v[8:9], v[8:9], 2, s[30:31]
	v_cmpx_gt_i64_e64 s[6:7], v[2:3]
	s_cbranch_execz .LBB10_41
; %bb.30:
	s_and_b32 vcc_lo, exec_lo, s4
	s_cbranch_vccz .LBB10_36
; %bb.31:
	s_and_b32 vcc_lo, exec_lo, s1
	s_mov_b32 s5, -1
	s_cbranch_vccz .LBB10_33
; %bb.32:
	v_lshl_add_u64 v[10:11], v[2:3], 2, v[8:9]
	v_mul_f32_e32 v13, s20, v4
	s_mov_b32 s5, 0
	global_load_b32 v12, v[10:11], off
	s_wait_loadcnt 0x0
	v_fmac_f32_e32 v13, s22, v12
	global_store_b32 v[10:11], v13, off
.LBB10_33:
	s_and_not1_b32 vcc_lo, exec_lo, s5
	s_cbranch_vccnz .LBB10_35
; %bb.34:
	s_wait_xcnt 0x0
	v_mul_u64_e32 v[10:11], s[2:3], v[2:3]
	v_mul_f32_e32 v13, s20, v4
	s_delay_alu instid0(VALU_DEP_2)
	v_lshl_add_u64 v[10:11], v[10:11], 2, v[6:7]
	global_load_b32 v12, v[10:11], off
	s_wait_loadcnt 0x0
	v_fmac_f32_e32 v13, s22, v12
	global_store_b32 v[10:11], v13, off
.LBB10_35:
	s_cbranch_execz .LBB10_37
	s_branch .LBB10_41
.LBB10_36:
.LBB10_37:
	v_mul_f32_e32 v4, s20, v4
	s_and_b32 vcc_lo, exec_lo, s1
	s_mov_b32 s5, -1
	s_cbranch_vccz .LBB10_39
; %bb.38:
	s_wait_xcnt 0x0
	v_lshl_add_u64 v[10:11], v[2:3], 2, v[8:9]
	s_mov_b32 s5, 0
	global_store_b32 v[10:11], v4, off
.LBB10_39:
	s_and_not1_b32 vcc_lo, exec_lo, s5
	s_cbranch_vccnz .LBB10_41
; %bb.40:
	v_mul_u64_e32 v[2:3], s[2:3], v[2:3]
	s_delay_alu instid0(VALU_DEP_1)
	v_lshl_add_u64 v[2:3], v[2:3], 2, v[6:7]
	global_store_b32 v[2:3], v4, off
.LBB10_41:
	s_wait_xcnt 0x0
	s_or_b32 exec_lo, exec_lo, s0
	v_cmp_gt_i64_e32 vcc_lo, s[6:7], v[0:1]
	s_and_b32 exec_lo, exec_lo, vcc_lo
	s_cbranch_execz .LBB10_48
; %bb.42:
	v_cndmask_b32_e64 v2, 0, 1, s1
	s_and_not1_b32 vcc_lo, exec_lo, s4
	s_delay_alu instid0(VALU_DEP_1)
	v_cmp_ne_u32_e64 s0, 1, v2
	s_cbranch_vccnz .LBB10_49
; %bb.43:
	s_and_b32 vcc_lo, exec_lo, s0
	s_mov_b32 s0, -1
	s_cbranch_vccnz .LBB10_45
; %bb.44:
	v_lshl_add_u64 v[2:3], v[0:1], 2, v[8:9]
	v_mul_f32_e32 v10, s20, v5
	s_mov_b32 s0, 0
	global_load_b32 v4, v[2:3], off
	s_wait_loadcnt 0x0
	v_fmac_f32_e32 v10, s22, v4
	global_store_b32 v[2:3], v10, off
.LBB10_45:
	s_and_not1_b32 vcc_lo, exec_lo, s0
	s_cbranch_vccnz .LBB10_47
; %bb.46:
	s_wait_xcnt 0x0
	v_mul_u64_e32 v[2:3], s[2:3], v[0:1]
	v_mul_f32_e32 v10, s20, v5
	s_delay_alu instid0(VALU_DEP_2)
	v_lshl_add_u64 v[2:3], v[2:3], 2, v[6:7]
	global_load_b32 v4, v[2:3], off
	s_wait_loadcnt 0x0
	v_fmac_f32_e32 v10, s22, v4
	global_store_b32 v[2:3], v10, off
.LBB10_47:
	s_cbranch_execz .LBB10_50
.LBB10_48:
	s_endpgm
.LBB10_49:
.LBB10_50:
	s_wait_xcnt 0x0
	v_mul_f32_e32 v2, s20, v5
	s_and_not1_b32 vcc_lo, exec_lo, s1
	s_mov_b32 s0, -1
	s_cbranch_vccnz .LBB10_52
; %bb.51:
	v_lshl_add_u64 v[4:5], v[0:1], 2, v[8:9]
	s_mov_b32 s0, 0
	global_store_b32 v[4:5], v2, off
.LBB10_52:
	s_and_not1_b32 vcc_lo, exec_lo, s0
	s_cbranch_vccnz .LBB10_48
; %bb.53:
	v_mul_u64_e32 v[0:1], s[2:3], v[0:1]
	s_delay_alu instid0(VALU_DEP_1)
	v_lshl_add_u64 v[0:1], v[0:1], 2, v[6:7]
	global_store_b32 v[0:1], v2, off
	s_endpgm
	.section	.rodata,"a",@progbits
	.p2align	6, 0x0
	.amdhsa_kernel _ZN9rocsparseL31bsrmm_large_blockdim_kernel_extILj16ELj16ELj2EllffffEEvb20rocsparse_direction_T3_S2_llNS_24const_host_device_scalarIT7_EEPKT2_PKS2_PKT4_S2_PKT5_llS5_PT6_ll16rocsparse_order_21rocsparse_index_base_b
		.amdhsa_group_segment_fixed_size 3072
		.amdhsa_private_segment_fixed_size 0
		.amdhsa_kernarg_size 148
		.amdhsa_user_sgpr_count 2
		.amdhsa_user_sgpr_dispatch_ptr 0
		.amdhsa_user_sgpr_queue_ptr 0
		.amdhsa_user_sgpr_kernarg_segment_ptr 1
		.amdhsa_user_sgpr_dispatch_id 0
		.amdhsa_user_sgpr_kernarg_preload_length 0
		.amdhsa_user_sgpr_kernarg_preload_offset 0
		.amdhsa_user_sgpr_private_segment_size 0
		.amdhsa_wavefront_size32 1
		.amdhsa_uses_dynamic_stack 0
		.amdhsa_enable_private_segment 0
		.amdhsa_system_sgpr_workgroup_id_x 1
		.amdhsa_system_sgpr_workgroup_id_y 1
		.amdhsa_system_sgpr_workgroup_id_z 0
		.amdhsa_system_sgpr_workgroup_info 0
		.amdhsa_system_vgpr_workitem_id 1
		.amdhsa_next_free_vgpr 30
		.amdhsa_next_free_sgpr 40
		.amdhsa_named_barrier_count 0
		.amdhsa_reserve_vcc 1
		.amdhsa_float_round_mode_32 0
		.amdhsa_float_round_mode_16_64 0
		.amdhsa_float_denorm_mode_32 3
		.amdhsa_float_denorm_mode_16_64 3
		.amdhsa_fp16_overflow 0
		.amdhsa_memory_ordered 1
		.amdhsa_forward_progress 1
		.amdhsa_inst_pref_size 14
		.amdhsa_round_robin_scheduling 0
		.amdhsa_exception_fp_ieee_invalid_op 0
		.amdhsa_exception_fp_denorm_src 0
		.amdhsa_exception_fp_ieee_div_zero 0
		.amdhsa_exception_fp_ieee_overflow 0
		.amdhsa_exception_fp_ieee_underflow 0
		.amdhsa_exception_fp_ieee_inexact 0
		.amdhsa_exception_int_div_zero 0
	.end_amdhsa_kernel
	.section	.text._ZN9rocsparseL31bsrmm_large_blockdim_kernel_extILj16ELj16ELj2EllffffEEvb20rocsparse_direction_T3_S2_llNS_24const_host_device_scalarIT7_EEPKT2_PKS2_PKT4_S2_PKT5_llS5_PT6_ll16rocsparse_order_21rocsparse_index_base_b,"axG",@progbits,_ZN9rocsparseL31bsrmm_large_blockdim_kernel_extILj16ELj16ELj2EllffffEEvb20rocsparse_direction_T3_S2_llNS_24const_host_device_scalarIT7_EEPKT2_PKS2_PKT4_S2_PKT5_llS5_PT6_ll16rocsparse_order_21rocsparse_index_base_b,comdat
.Lfunc_end10:
	.size	_ZN9rocsparseL31bsrmm_large_blockdim_kernel_extILj16ELj16ELj2EllffffEEvb20rocsparse_direction_T3_S2_llNS_24const_host_device_scalarIT7_EEPKT2_PKS2_PKT4_S2_PKT5_llS5_PT6_ll16rocsparse_order_21rocsparse_index_base_b, .Lfunc_end10-_ZN9rocsparseL31bsrmm_large_blockdim_kernel_extILj16ELj16ELj2EllffffEEvb20rocsparse_direction_T3_S2_llNS_24const_host_device_scalarIT7_EEPKT2_PKS2_PKT4_S2_PKT5_llS5_PT6_ll16rocsparse_order_21rocsparse_index_base_b
                                        ; -- End function
	.set _ZN9rocsparseL31bsrmm_large_blockdim_kernel_extILj16ELj16ELj2EllffffEEvb20rocsparse_direction_T3_S2_llNS_24const_host_device_scalarIT7_EEPKT2_PKS2_PKT4_S2_PKT5_llS5_PT6_ll16rocsparse_order_21rocsparse_index_base_b.num_vgpr, 30
	.set _ZN9rocsparseL31bsrmm_large_blockdim_kernel_extILj16ELj16ELj2EllffffEEvb20rocsparse_direction_T3_S2_llNS_24const_host_device_scalarIT7_EEPKT2_PKS2_PKT4_S2_PKT5_llS5_PT6_ll16rocsparse_order_21rocsparse_index_base_b.num_agpr, 0
	.set _ZN9rocsparseL31bsrmm_large_blockdim_kernel_extILj16ELj16ELj2EllffffEEvb20rocsparse_direction_T3_S2_llNS_24const_host_device_scalarIT7_EEPKT2_PKS2_PKT4_S2_PKT5_llS5_PT6_ll16rocsparse_order_21rocsparse_index_base_b.numbered_sgpr, 40
	.set _ZN9rocsparseL31bsrmm_large_blockdim_kernel_extILj16ELj16ELj2EllffffEEvb20rocsparse_direction_T3_S2_llNS_24const_host_device_scalarIT7_EEPKT2_PKS2_PKT4_S2_PKT5_llS5_PT6_ll16rocsparse_order_21rocsparse_index_base_b.num_named_barrier, 0
	.set _ZN9rocsparseL31bsrmm_large_blockdim_kernel_extILj16ELj16ELj2EllffffEEvb20rocsparse_direction_T3_S2_llNS_24const_host_device_scalarIT7_EEPKT2_PKS2_PKT4_S2_PKT5_llS5_PT6_ll16rocsparse_order_21rocsparse_index_base_b.private_seg_size, 0
	.set _ZN9rocsparseL31bsrmm_large_blockdim_kernel_extILj16ELj16ELj2EllffffEEvb20rocsparse_direction_T3_S2_llNS_24const_host_device_scalarIT7_EEPKT2_PKS2_PKT4_S2_PKT5_llS5_PT6_ll16rocsparse_order_21rocsparse_index_base_b.uses_vcc, 1
	.set _ZN9rocsparseL31bsrmm_large_blockdim_kernel_extILj16ELj16ELj2EllffffEEvb20rocsparse_direction_T3_S2_llNS_24const_host_device_scalarIT7_EEPKT2_PKS2_PKT4_S2_PKT5_llS5_PT6_ll16rocsparse_order_21rocsparse_index_base_b.uses_flat_scratch, 0
	.set _ZN9rocsparseL31bsrmm_large_blockdim_kernel_extILj16ELj16ELj2EllffffEEvb20rocsparse_direction_T3_S2_llNS_24const_host_device_scalarIT7_EEPKT2_PKS2_PKT4_S2_PKT5_llS5_PT6_ll16rocsparse_order_21rocsparse_index_base_b.has_dyn_sized_stack, 0
	.set _ZN9rocsparseL31bsrmm_large_blockdim_kernel_extILj16ELj16ELj2EllffffEEvb20rocsparse_direction_T3_S2_llNS_24const_host_device_scalarIT7_EEPKT2_PKS2_PKT4_S2_PKT5_llS5_PT6_ll16rocsparse_order_21rocsparse_index_base_b.has_recursion, 0
	.set _ZN9rocsparseL31bsrmm_large_blockdim_kernel_extILj16ELj16ELj2EllffffEEvb20rocsparse_direction_T3_S2_llNS_24const_host_device_scalarIT7_EEPKT2_PKS2_PKT4_S2_PKT5_llS5_PT6_ll16rocsparse_order_21rocsparse_index_base_b.has_indirect_call, 0
	.section	.AMDGPU.csdata,"",@progbits
; Kernel info:
; codeLenInByte = 1736
; TotalNumSgprs: 42
; NumVgprs: 30
; ScratchSize: 0
; MemoryBound: 0
; FloatMode: 240
; IeeeMode: 1
; LDSByteSize: 3072 bytes/workgroup (compile time only)
; SGPRBlocks: 0
; VGPRBlocks: 1
; NumSGPRsForWavesPerEU: 42
; NumVGPRsForWavesPerEU: 30
; NamedBarCnt: 0
; Occupancy: 16
; WaveLimiterHint : 1
; COMPUTE_PGM_RSRC2:SCRATCH_EN: 0
; COMPUTE_PGM_RSRC2:USER_SGPR: 2
; COMPUTE_PGM_RSRC2:TRAP_HANDLER: 0
; COMPUTE_PGM_RSRC2:TGID_X_EN: 1
; COMPUTE_PGM_RSRC2:TGID_Y_EN: 1
; COMPUTE_PGM_RSRC2:TGID_Z_EN: 0
; COMPUTE_PGM_RSRC2:TIDIG_COMP_CNT: 1
	.section	.text._ZN9rocsparseL31bsrmm_large_blockdim_kernel_extILj32ELj32ELj2EllffffEEvb20rocsparse_direction_T3_S2_llNS_24const_host_device_scalarIT7_EEPKT2_PKS2_PKT4_S2_PKT5_llS5_PT6_ll16rocsparse_order_21rocsparse_index_base_b,"axG",@progbits,_ZN9rocsparseL31bsrmm_large_blockdim_kernel_extILj32ELj32ELj2EllffffEEvb20rocsparse_direction_T3_S2_llNS_24const_host_device_scalarIT7_EEPKT2_PKS2_PKT4_S2_PKT5_llS5_PT6_ll16rocsparse_order_21rocsparse_index_base_b,comdat
	.globl	_ZN9rocsparseL31bsrmm_large_blockdim_kernel_extILj32ELj32ELj2EllffffEEvb20rocsparse_direction_T3_S2_llNS_24const_host_device_scalarIT7_EEPKT2_PKS2_PKT4_S2_PKT5_llS5_PT6_ll16rocsparse_order_21rocsparse_index_base_b ; -- Begin function _ZN9rocsparseL31bsrmm_large_blockdim_kernel_extILj32ELj32ELj2EllffffEEvb20rocsparse_direction_T3_S2_llNS_24const_host_device_scalarIT7_EEPKT2_PKS2_PKT4_S2_PKT5_llS5_PT6_ll16rocsparse_order_21rocsparse_index_base_b
	.p2align	8
	.type	_ZN9rocsparseL31bsrmm_large_blockdim_kernel_extILj32ELj32ELj2EllffffEEvb20rocsparse_direction_T3_S2_llNS_24const_host_device_scalarIT7_EEPKT2_PKS2_PKT4_S2_PKT5_llS5_PT6_ll16rocsparse_order_21rocsparse_index_base_b,@function
_ZN9rocsparseL31bsrmm_large_blockdim_kernel_extILj32ELj32ELj2EllffffEEvb20rocsparse_direction_T3_S2_llNS_24const_host_device_scalarIT7_EEPKT2_PKS2_PKT4_S2_PKT5_llS5_PT6_ll16rocsparse_order_21rocsparse_index_base_b: ; @_ZN9rocsparseL31bsrmm_large_blockdim_kernel_extILj32ELj32ELj2EllffffEEvb20rocsparse_direction_T3_S2_llNS_24const_host_device_scalarIT7_EEPKT2_PKS2_PKT4_S2_PKT5_llS5_PT6_ll16rocsparse_order_21rocsparse_index_base_b
; %bb.0:
	s_clause 0x2
	s_load_b96 s[16:18], s[0:1], 0x88
	s_load_b64 s[20:21], s[0:1], 0x28
	s_load_b64 s[22:23], s[0:1], 0x68
	s_wait_kmcnt 0x0
	s_bitcmp1_b32 s18, 0
	s_cselect_b32 s2, -1, 0
	s_delay_alu instid0(SALU_CYCLE_1)
	s_and_b32 vcc_lo, exec_lo, s2
	s_xor_b32 s2, s2, -1
	s_cbranch_vccnz .LBB11_2
; %bb.1:
	s_load_b32 s20, s[20:21], 0x0
.LBB11_2:
	s_and_not1_b32 vcc_lo, exec_lo, s2
	s_cbranch_vccnz .LBB11_4
; %bb.3:
	s_load_b32 s22, s[22:23], 0x0
.LBB11_4:
	s_wait_kmcnt 0x0
	s_cmp_eq_f32 s20, 0
	s_cselect_b32 s2, -1, 0
	s_cmp_eq_f32 s22, 1.0
	s_cselect_b32 s3, -1, 0
	s_delay_alu instid0(SALU_CYCLE_1) | instskip(NEXT) | instid1(SALU_CYCLE_1)
	s_and_b32 s2, s2, s3
	s_and_b32 vcc_lo, exec_lo, s2
	s_cbranch_vccnz .LBB11_48
; %bb.5:
	s_clause 0x1
	s_load_b128 s[4:7], s[0:1], 0x8
	s_load_b64 s[2:3], s[0:1], 0x30
	s_bfe_u32 s8, ttmp6, 0x4000c
	s_and_b32 s9, ttmp6, 15
	s_add_co_i32 s8, s8, 1
	s_mov_b64 s[24:25], 0
	s_mul_i32 s10, ttmp9, s8
	s_getreg_b32 s8, hwreg(HW_REG_IB_STS2, 6, 4)
	s_add_co_i32 s9, s9, s10
	s_cmp_eq_u32 s8, 0
	s_mov_b64 s[26:27], 0
	s_cselect_b32 s18, ttmp9, s9
	s_delay_alu instid0(SALU_CYCLE_1)
	s_ashr_i32 s19, s18, 31
	s_wait_kmcnt 0x0
	v_cmp_le_i64_e64 s9, s[4:5], s[18:19]
	v_cmp_gt_i64_e64 s21, s[4:5], s[18:19]
	s_and_b32 vcc_lo, exec_lo, s9
	s_cbranch_vccnz .LBB11_7
; %bb.6:
	s_lshl_b64 s[4:5], s[18:19], 3
	s_mov_b32 s11, 0
	s_add_nc_u64 s[4:5], s[2:3], s[4:5]
	s_mov_b32 s10, s17
	s_load_b64 s[4:5], s[4:5], 0x0
	s_wait_kmcnt 0x0
	s_sub_nc_u64 s[26:27], s[4:5], s[10:11]
.LBB11_7:
	s_and_not1_b32 vcc_lo, exec_lo, s21
	s_cbranch_vccnz .LBB11_9
; %bb.8:
	s_lshl_b64 s[4:5], s[18:19], 3
	s_delay_alu instid0(SALU_CYCLE_1)
	s_add_nc_u64 s[2:3], s[2:3], s[4:5]
	s_mov_b32 s5, 0
	s_load_b64 s[2:3], s[2:3], 0x8
	s_mov_b32 s4, s17
	s_wait_kmcnt 0x0
	s_sub_nc_u64 s[24:25], s[2:3], s[4:5]
.LBB11_9:
	s_bfe_u32 s2, ttmp6, 0x40010
	s_clause 0x1
	s_load_b64 s[28:29], s[0:1], 0x48
	s_load_b64 s[30:31], s[0:1], 0x70
	s_add_co_i32 s2, s2, 1
	s_bfe_u32 s3, ttmp6, 0x40004
	s_mul_i32 s2, ttmp7, s2
	v_bfe_u32 v4, v0, 10, 10
	s_add_co_i32 s3, s3, s2
	s_cmp_eq_u32 s8, 0
	v_and_b32_e32 v6, 0x3ff, v0
	s_cselect_b32 s2, ttmp7, s3
	v_cmp_ge_i64_e64 s5, s[26:27], s[24:25]
	v_lshl_add_u32 v2, s2, 6, v4
	v_mov_b32_e32 v3, 0
	s_mov_b32 s35, 0
	s_delay_alu instid0(VALU_DEP_1)
	v_dual_mov_b32 v7, v3 :: v_dual_add_nc_u32 v0, 32, v2
	v_mov_b32_e32 v1, v3
	v_cmp_gt_i64_e64 s3, s[6:7], v[2:3]
	s_and_b32 vcc_lo, exec_lo, s5
	s_wait_kmcnt 0x0
	v_cmp_gt_i64_e64 s2, s[28:29], v[6:7]
	v_cmp_gt_i64_e64 s4, s[6:7], v[0:1]
	s_cbranch_vccnz .LBB11_27
; %bb.10:
	v_dual_mov_b32 v5, v3 :: v_dual_lshlrev_b32 v16, 2, v4
	s_load_b128 s[8:11], s[0:1], 0x50
	v_mul_u64_e32 v[12:13], s[28:29], v[6:7]
	s_clause 0x1
	s_load_b128 s[12:15], s[0:1], 0x38
	s_load_b64 s[38:39], s[0:1], 0x0
	v_mul_u64_e32 v[14:15], s[28:29], v[4:5]
	v_cmp_gt_i64_e32 vcc_lo, s[28:29], v[4:5]
	v_dual_mov_b32 v19, v3 :: v_dual_lshlrev_b32 v18, 2, v6
	v_dual_lshlrev_b32 v20, 7, v4 :: v_dual_lshlrev_b32 v24, 7, v6
	v_mov_b32_e32 v17, v3
	v_cmp_gt_i64_e64 s23, s[28:29], 0
	s_and_b32 s19, s2, vcc_lo
	v_add_nc_u32_e32 v22, 0x1000, v20
	v_mov_b64_e32 v[4:5], 0
	v_add_nc_u32_e32 v21, 0x2000, v24
	s_mul_u64 s[36:37], s[28:29], s[28:29]
	s_mov_b32 s34, s17
	s_wait_kmcnt 0x0
	v_mul_u64_e32 v[8:9], s[10:11], v[2:3]
	v_mul_u64_e32 v[10:11], s[10:11], v[0:1]
	s_bitcmp1_b32 s38, 0
	s_cselect_b32 s5, -1, 0
	s_cmp_eq_u32 s39, 0
	s_cselect_b32 vcc_lo, -1, 0
	s_and_b32 s17, s3, s23
	s_and_b32 s23, s4, s23
	v_lshl_add_u64 v[12:13], v[12:13], 2, s[14:15]
	v_lshl_add_u64 v[14:15], v[14:15], 2, s[14:15]
	s_delay_alu instid0(VALU_DEP_1) | instskip(SKIP_1) | instid1(VALU_DEP_4)
	v_add_nc_u64_e32 v[14:15], v[14:15], v[18:19]
	v_add_nc_u32_e32 v25, 0x2000, v16
	v_add_nc_u64_e32 v[16:17], v[12:13], v[16:17]
	v_add_nc_u64_e32 v[12:13], s[8:9], v[18:19]
	s_delay_alu instid0(VALU_DEP_2) | instskip(NEXT) | instid1(VALU_DEP_3)
	v_dual_add_nc_u32 v23, v18, v20 :: v_dual_cndmask_b32 v15, v15, v17, vcc_lo
	v_cndmask_b32_e32 v14, v14, v16, vcc_lo
	v_add_nc_u32_e32 v24, v25, v24
	s_branch .LBB11_13
.LBB11_11:                              ;   in Loop: Header=BB11_13 Depth=1
	s_or_b32 exec_lo, exec_lo, s38
.LBB11_12:                              ;   in Loop: Header=BB11_13 Depth=1
	s_delay_alu instid0(SALU_CYCLE_1) | instskip(SKIP_1) | instid1(SALU_CYCLE_1)
	s_or_b32 exec_lo, exec_lo, s33
	s_add_nc_u64 s[26:27], s[26:27], 1
	v_cmp_ge_i64_e64 s14, s[26:27], s[24:25]
	s_barrier_signal -1
	s_barrier_wait -1
	s_and_b32 vcc_lo, exec_lo, s14
	s_cbranch_vccnz .LBB11_28
.LBB11_13:                              ; =>This Loop Header: Depth=1
                                        ;     Child Loop BB11_23 Depth 2
                                        ;     Child Loop BB11_26 Depth 2
	s_and_saveexec_b32 s14, s2
	s_cbranch_execz .LBB11_18
; %bb.14:                               ;   in Loop: Header=BB11_13 Depth=1
	s_lshl_b64 s[38:39], s[26:27], 3
	s_delay_alu instid0(SALU_CYCLE_1) | instskip(SKIP_3) | instid1(SALU_CYCLE_1)
	s_add_nc_u64 s[38:39], s[12:13], s[38:39]
	s_load_b64 s[38:39], s[38:39], 0x0
	s_wait_kmcnt 0x0
	s_sub_nc_u64 s[38:39], s[38:39], s[34:35]
	s_mul_u64 s[38:39], s[38:39], s[28:29]
	s_delay_alu instid0(SALU_CYCLE_1) | instskip(SKIP_1) | instid1(VALU_DEP_2)
	v_add_nc_u64_e32 v[16:17], s[38:39], v[6:7]
	v_lshl_add_u64 v[18:19], s[38:39], 2, v[12:13]
	v_mul_u64_e32 v[16:17], s[10:11], v[16:17]
	s_delay_alu instid0(VALU_DEP_1)
	v_lshl_add_u64 v[16:17], v[16:17], 2, s[8:9]
	s_and_saveexec_b32 s15, s3
	s_cbranch_execz .LBB11_16
; %bb.15:                               ;   in Loop: Header=BB11_13 Depth=1
	s_delay_alu instid0(VALU_DEP_1) | instskip(SKIP_1) | instid1(VALU_DEP_1)
	v_lshl_add_u64 v[26:27], v[2:3], 2, v[16:17]
	v_lshl_add_u64 v[28:29], v[8:9], 2, v[18:19]
	v_dual_cndmask_b32 v27, v27, v29, s5 :: v_dual_cndmask_b32 v26, v26, v28, s5
	global_load_b32 v25, v[26:27], off
	s_wait_loadcnt 0x0
	ds_store_b32 v23, v25
.LBB11_16:                              ;   in Loop: Header=BB11_13 Depth=1
	s_or_b32 exec_lo, exec_lo, s15
	s_delay_alu instid0(SALU_CYCLE_1)
	s_and_b32 exec_lo, exec_lo, s4
	s_cbranch_execz .LBB11_18
; %bb.17:                               ;   in Loop: Header=BB11_13 Depth=1
	v_lshl_add_u64 v[18:19], v[10:11], 2, v[18:19]
	v_lshl_add_u64 v[16:17], v[0:1], 2, v[16:17]
	s_delay_alu instid0(VALU_DEP_1)
	v_dual_cndmask_b32 v17, v17, v19, s5 :: v_dual_cndmask_b32 v16, v16, v18, s5
	global_load_b32 v16, v[16:17], off
	s_wait_loadcnt 0x0
	ds_store_b32 v23, v16 offset:4096
.LBB11_18:                              ;   in Loop: Header=BB11_13 Depth=1
	s_or_b32 exec_lo, exec_lo, s14
	s_and_saveexec_b32 s14, s19
	s_cbranch_execz .LBB11_20
; %bb.19:                               ;   in Loop: Header=BB11_13 Depth=1
	s_mul_u64 s[38:39], s[36:37], s[26:27]
	s_delay_alu instid0(SALU_CYCLE_1)
	v_lshl_add_u64 v[16:17], s[38:39], 2, v[14:15]
	global_load_b32 v16, v[16:17], off
	s_wait_loadcnt 0x0
	ds_store_b32 v24, v16
.LBB11_20:                              ;   in Loop: Header=BB11_13 Depth=1
	s_or_b32 exec_lo, exec_lo, s14
	s_wait_dscnt 0x0
	s_barrier_signal -1
	s_barrier_wait -1
	s_and_saveexec_b32 s33, s2
	s_cbranch_execz .LBB11_12
; %bb.21:                               ;   in Loop: Header=BB11_13 Depth=1
	s_and_saveexec_b32 s38, s17
	s_cbranch_execz .LBB11_24
; %bb.22:                               ;   in Loop: Header=BB11_13 Depth=1
	v_dual_mov_b32 v16, v21 :: v_dual_mov_b32 v17, v20
	s_mov_b64 s[14:15], s[28:29]
.LBB11_23:                              ;   Parent Loop BB11_13 Depth=1
                                        ; =>  This Inner Loop Header: Depth=2
	ds_load_b32 v18, v16
	ds_load_b32 v19, v17
	v_dual_add_nc_u32 v17, 4, v17 :: v_dual_add_nc_u32 v16, 4, v16
	s_add_nc_u64 s[14:15], s[14:15], -1
	s_delay_alu instid0(SALU_CYCLE_1)
	s_cmp_lg_u64 s[14:15], 0
	s_wait_dscnt 0x0
	v_fma_f32 v4, v18, v19, v4
	s_cbranch_scc1 .LBB11_23
.LBB11_24:                              ;   in Loop: Header=BB11_13 Depth=1
	s_or_b32 exec_lo, exec_lo, s38
	s_and_saveexec_b32 s38, s23
	s_cbranch_execz .LBB11_11
; %bb.25:                               ;   in Loop: Header=BB11_13 Depth=1
	v_dual_mov_b32 v16, v21 :: v_dual_mov_b32 v17, v22
	s_mov_b64 s[14:15], s[28:29]
.LBB11_26:                              ;   Parent Loop BB11_13 Depth=1
                                        ; =>  This Inner Loop Header: Depth=2
	ds_load_b32 v18, v16
	ds_load_b32 v19, v17
	v_dual_add_nc_u32 v17, 4, v17 :: v_dual_add_nc_u32 v16, 4, v16
	s_add_nc_u64 s[14:15], s[14:15], -1
	s_delay_alu instid0(SALU_CYCLE_1)
	s_cmp_lg_u64 s[14:15], 0
	s_wait_dscnt 0x0
	v_fma_f32 v5, v18, v19, v5
	s_cbranch_scc1 .LBB11_26
	s_branch .LBB11_11
.LBB11_27:
	v_mov_b64_e32 v[4:5], 0
.LBB11_28:
	s_and_b32 s2, s21, s2
	s_delay_alu instid0(SALU_CYCLE_1)
	s_and_saveexec_b32 s3, s2
	s_cbranch_execz .LBB11_48
; %bb.29:
	v_mad_nc_u64_u32 v[6:7], s28, s18, v[6:7]
	s_load_b64 s[2:3], s[0:1], 0x78
	s_cmp_neq_f32 s22, 0
	s_wait_xcnt 0x0
	s_mov_b32 s0, exec_lo
	s_cselect_b32 s4, -1, 0
	s_cmp_lg_u32 s16, 1
	s_cselect_b32 s1, -1, 0
	s_delay_alu instid0(VALU_DEP_1) | instskip(SKIP_1) | instid1(VALU_DEP_1)
	v_mad_u32 v7, s29, s18, v7
	s_wait_kmcnt 0x0
	v_mul_u64_e32 v[8:9], s[2:3], v[6:7]
	v_lshl_add_u64 v[6:7], v[6:7], 2, s[30:31]
	s_delay_alu instid0(VALU_DEP_2)
	v_lshl_add_u64 v[8:9], v[8:9], 2, s[30:31]
	v_cmpx_gt_i64_e64 s[6:7], v[2:3]
	s_cbranch_execz .LBB11_41
; %bb.30:
	s_and_b32 vcc_lo, exec_lo, s4
	s_cbranch_vccz .LBB11_36
; %bb.31:
	s_and_b32 vcc_lo, exec_lo, s1
	s_mov_b32 s5, -1
	s_cbranch_vccz .LBB11_33
; %bb.32:
	v_lshl_add_u64 v[10:11], v[2:3], 2, v[8:9]
	v_mul_f32_e32 v13, s20, v4
	s_mov_b32 s5, 0
	global_load_b32 v12, v[10:11], off
	s_wait_loadcnt 0x0
	v_fmac_f32_e32 v13, s22, v12
	global_store_b32 v[10:11], v13, off
.LBB11_33:
	s_and_not1_b32 vcc_lo, exec_lo, s5
	s_cbranch_vccnz .LBB11_35
; %bb.34:
	s_wait_xcnt 0x0
	v_mul_u64_e32 v[10:11], s[2:3], v[2:3]
	v_mul_f32_e32 v13, s20, v4
	s_delay_alu instid0(VALU_DEP_2)
	v_lshl_add_u64 v[10:11], v[10:11], 2, v[6:7]
	global_load_b32 v12, v[10:11], off
	s_wait_loadcnt 0x0
	v_fmac_f32_e32 v13, s22, v12
	global_store_b32 v[10:11], v13, off
.LBB11_35:
	s_cbranch_execz .LBB11_37
	s_branch .LBB11_41
.LBB11_36:
.LBB11_37:
	v_mul_f32_e32 v4, s20, v4
	s_and_b32 vcc_lo, exec_lo, s1
	s_mov_b32 s5, -1
	s_cbranch_vccz .LBB11_39
; %bb.38:
	s_wait_xcnt 0x0
	v_lshl_add_u64 v[10:11], v[2:3], 2, v[8:9]
	s_mov_b32 s5, 0
	global_store_b32 v[10:11], v4, off
.LBB11_39:
	s_and_not1_b32 vcc_lo, exec_lo, s5
	s_cbranch_vccnz .LBB11_41
; %bb.40:
	v_mul_u64_e32 v[2:3], s[2:3], v[2:3]
	s_delay_alu instid0(VALU_DEP_1)
	v_lshl_add_u64 v[2:3], v[2:3], 2, v[6:7]
	global_store_b32 v[2:3], v4, off
.LBB11_41:
	s_wait_xcnt 0x0
	s_or_b32 exec_lo, exec_lo, s0
	v_cmp_gt_i64_e32 vcc_lo, s[6:7], v[0:1]
	s_and_b32 exec_lo, exec_lo, vcc_lo
	s_cbranch_execz .LBB11_48
; %bb.42:
	v_cndmask_b32_e64 v2, 0, 1, s1
	s_and_not1_b32 vcc_lo, exec_lo, s4
	s_delay_alu instid0(VALU_DEP_1)
	v_cmp_ne_u32_e64 s0, 1, v2
	s_cbranch_vccnz .LBB11_49
; %bb.43:
	s_and_b32 vcc_lo, exec_lo, s0
	s_mov_b32 s0, -1
	s_cbranch_vccnz .LBB11_45
; %bb.44:
	v_lshl_add_u64 v[2:3], v[0:1], 2, v[8:9]
	v_mul_f32_e32 v10, s20, v5
	s_mov_b32 s0, 0
	global_load_b32 v4, v[2:3], off
	s_wait_loadcnt 0x0
	v_fmac_f32_e32 v10, s22, v4
	global_store_b32 v[2:3], v10, off
.LBB11_45:
	s_and_not1_b32 vcc_lo, exec_lo, s0
	s_cbranch_vccnz .LBB11_47
; %bb.46:
	s_wait_xcnt 0x0
	v_mul_u64_e32 v[2:3], s[2:3], v[0:1]
	v_mul_f32_e32 v10, s20, v5
	s_delay_alu instid0(VALU_DEP_2)
	v_lshl_add_u64 v[2:3], v[2:3], 2, v[6:7]
	global_load_b32 v4, v[2:3], off
	s_wait_loadcnt 0x0
	v_fmac_f32_e32 v10, s22, v4
	global_store_b32 v[2:3], v10, off
.LBB11_47:
	s_cbranch_execz .LBB11_50
.LBB11_48:
	s_endpgm
.LBB11_49:
.LBB11_50:
	s_wait_xcnt 0x0
	v_mul_f32_e32 v2, s20, v5
	s_and_not1_b32 vcc_lo, exec_lo, s1
	s_mov_b32 s0, -1
	s_cbranch_vccnz .LBB11_52
; %bb.51:
	v_lshl_add_u64 v[4:5], v[0:1], 2, v[8:9]
	s_mov_b32 s0, 0
	global_store_b32 v[4:5], v2, off
.LBB11_52:
	s_and_not1_b32 vcc_lo, exec_lo, s0
	s_cbranch_vccnz .LBB11_48
; %bb.53:
	v_mul_u64_e32 v[0:1], s[2:3], v[0:1]
	s_delay_alu instid0(VALU_DEP_1)
	v_lshl_add_u64 v[0:1], v[0:1], 2, v[6:7]
	global_store_b32 v[0:1], v2, off
	s_endpgm
	.section	.rodata,"a",@progbits
	.p2align	6, 0x0
	.amdhsa_kernel _ZN9rocsparseL31bsrmm_large_blockdim_kernel_extILj32ELj32ELj2EllffffEEvb20rocsparse_direction_T3_S2_llNS_24const_host_device_scalarIT7_EEPKT2_PKS2_PKT4_S2_PKT5_llS5_PT6_ll16rocsparse_order_21rocsparse_index_base_b
		.amdhsa_group_segment_fixed_size 12288
		.amdhsa_private_segment_fixed_size 0
		.amdhsa_kernarg_size 148
		.amdhsa_user_sgpr_count 2
		.amdhsa_user_sgpr_dispatch_ptr 0
		.amdhsa_user_sgpr_queue_ptr 0
		.amdhsa_user_sgpr_kernarg_segment_ptr 1
		.amdhsa_user_sgpr_dispatch_id 0
		.amdhsa_user_sgpr_kernarg_preload_length 0
		.amdhsa_user_sgpr_kernarg_preload_offset 0
		.amdhsa_user_sgpr_private_segment_size 0
		.amdhsa_wavefront_size32 1
		.amdhsa_uses_dynamic_stack 0
		.amdhsa_enable_private_segment 0
		.amdhsa_system_sgpr_workgroup_id_x 1
		.amdhsa_system_sgpr_workgroup_id_y 1
		.amdhsa_system_sgpr_workgroup_id_z 0
		.amdhsa_system_sgpr_workgroup_info 0
		.amdhsa_system_vgpr_workitem_id 1
		.amdhsa_next_free_vgpr 30
		.amdhsa_next_free_sgpr 40
		.amdhsa_named_barrier_count 0
		.amdhsa_reserve_vcc 1
		.amdhsa_float_round_mode_32 0
		.amdhsa_float_round_mode_16_64 0
		.amdhsa_float_denorm_mode_32 3
		.amdhsa_float_denorm_mode_16_64 3
		.amdhsa_fp16_overflow 0
		.amdhsa_memory_ordered 1
		.amdhsa_forward_progress 1
		.amdhsa_inst_pref_size 14
		.amdhsa_round_robin_scheduling 0
		.amdhsa_exception_fp_ieee_invalid_op 0
		.amdhsa_exception_fp_denorm_src 0
		.amdhsa_exception_fp_ieee_div_zero 0
		.amdhsa_exception_fp_ieee_overflow 0
		.amdhsa_exception_fp_ieee_underflow 0
		.amdhsa_exception_fp_ieee_inexact 0
		.amdhsa_exception_int_div_zero 0
	.end_amdhsa_kernel
	.section	.text._ZN9rocsparseL31bsrmm_large_blockdim_kernel_extILj32ELj32ELj2EllffffEEvb20rocsparse_direction_T3_S2_llNS_24const_host_device_scalarIT7_EEPKT2_PKS2_PKT4_S2_PKT5_llS5_PT6_ll16rocsparse_order_21rocsparse_index_base_b,"axG",@progbits,_ZN9rocsparseL31bsrmm_large_blockdim_kernel_extILj32ELj32ELj2EllffffEEvb20rocsparse_direction_T3_S2_llNS_24const_host_device_scalarIT7_EEPKT2_PKS2_PKT4_S2_PKT5_llS5_PT6_ll16rocsparse_order_21rocsparse_index_base_b,comdat
.Lfunc_end11:
	.size	_ZN9rocsparseL31bsrmm_large_blockdim_kernel_extILj32ELj32ELj2EllffffEEvb20rocsparse_direction_T3_S2_llNS_24const_host_device_scalarIT7_EEPKT2_PKS2_PKT4_S2_PKT5_llS5_PT6_ll16rocsparse_order_21rocsparse_index_base_b, .Lfunc_end11-_ZN9rocsparseL31bsrmm_large_blockdim_kernel_extILj32ELj32ELj2EllffffEEvb20rocsparse_direction_T3_S2_llNS_24const_host_device_scalarIT7_EEPKT2_PKS2_PKT4_S2_PKT5_llS5_PT6_ll16rocsparse_order_21rocsparse_index_base_b
                                        ; -- End function
	.set _ZN9rocsparseL31bsrmm_large_blockdim_kernel_extILj32ELj32ELj2EllffffEEvb20rocsparse_direction_T3_S2_llNS_24const_host_device_scalarIT7_EEPKT2_PKS2_PKT4_S2_PKT5_llS5_PT6_ll16rocsparse_order_21rocsparse_index_base_b.num_vgpr, 30
	.set _ZN9rocsparseL31bsrmm_large_blockdim_kernel_extILj32ELj32ELj2EllffffEEvb20rocsparse_direction_T3_S2_llNS_24const_host_device_scalarIT7_EEPKT2_PKS2_PKT4_S2_PKT5_llS5_PT6_ll16rocsparse_order_21rocsparse_index_base_b.num_agpr, 0
	.set _ZN9rocsparseL31bsrmm_large_blockdim_kernel_extILj32ELj32ELj2EllffffEEvb20rocsparse_direction_T3_S2_llNS_24const_host_device_scalarIT7_EEPKT2_PKS2_PKT4_S2_PKT5_llS5_PT6_ll16rocsparse_order_21rocsparse_index_base_b.numbered_sgpr, 40
	.set _ZN9rocsparseL31bsrmm_large_blockdim_kernel_extILj32ELj32ELj2EllffffEEvb20rocsparse_direction_T3_S2_llNS_24const_host_device_scalarIT7_EEPKT2_PKS2_PKT4_S2_PKT5_llS5_PT6_ll16rocsparse_order_21rocsparse_index_base_b.num_named_barrier, 0
	.set _ZN9rocsparseL31bsrmm_large_blockdim_kernel_extILj32ELj32ELj2EllffffEEvb20rocsparse_direction_T3_S2_llNS_24const_host_device_scalarIT7_EEPKT2_PKS2_PKT4_S2_PKT5_llS5_PT6_ll16rocsparse_order_21rocsparse_index_base_b.private_seg_size, 0
	.set _ZN9rocsparseL31bsrmm_large_blockdim_kernel_extILj32ELj32ELj2EllffffEEvb20rocsparse_direction_T3_S2_llNS_24const_host_device_scalarIT7_EEPKT2_PKS2_PKT4_S2_PKT5_llS5_PT6_ll16rocsparse_order_21rocsparse_index_base_b.uses_vcc, 1
	.set _ZN9rocsparseL31bsrmm_large_blockdim_kernel_extILj32ELj32ELj2EllffffEEvb20rocsparse_direction_T3_S2_llNS_24const_host_device_scalarIT7_EEPKT2_PKS2_PKT4_S2_PKT5_llS5_PT6_ll16rocsparse_order_21rocsparse_index_base_b.uses_flat_scratch, 0
	.set _ZN9rocsparseL31bsrmm_large_blockdim_kernel_extILj32ELj32ELj2EllffffEEvb20rocsparse_direction_T3_S2_llNS_24const_host_device_scalarIT7_EEPKT2_PKS2_PKT4_S2_PKT5_llS5_PT6_ll16rocsparse_order_21rocsparse_index_base_b.has_dyn_sized_stack, 0
	.set _ZN9rocsparseL31bsrmm_large_blockdim_kernel_extILj32ELj32ELj2EllffffEEvb20rocsparse_direction_T3_S2_llNS_24const_host_device_scalarIT7_EEPKT2_PKS2_PKT4_S2_PKT5_llS5_PT6_ll16rocsparse_order_21rocsparse_index_base_b.has_recursion, 0
	.set _ZN9rocsparseL31bsrmm_large_blockdim_kernel_extILj32ELj32ELj2EllffffEEvb20rocsparse_direction_T3_S2_llNS_24const_host_device_scalarIT7_EEPKT2_PKS2_PKT4_S2_PKT5_llS5_PT6_ll16rocsparse_order_21rocsparse_index_base_b.has_indirect_call, 0
	.section	.AMDGPU.csdata,"",@progbits
; Kernel info:
; codeLenInByte = 1736
; TotalNumSgprs: 42
; NumVgprs: 30
; ScratchSize: 0
; MemoryBound: 0
; FloatMode: 240
; IeeeMode: 1
; LDSByteSize: 12288 bytes/workgroup (compile time only)
; SGPRBlocks: 0
; VGPRBlocks: 1
; NumSGPRsForWavesPerEU: 42
; NumVGPRsForWavesPerEU: 30
; NamedBarCnt: 0
; Occupancy: 16
; WaveLimiterHint : 1
; COMPUTE_PGM_RSRC2:SCRATCH_EN: 0
; COMPUTE_PGM_RSRC2:USER_SGPR: 2
; COMPUTE_PGM_RSRC2:TRAP_HANDLER: 0
; COMPUTE_PGM_RSRC2:TGID_X_EN: 1
; COMPUTE_PGM_RSRC2:TGID_Y_EN: 1
; COMPUTE_PGM_RSRC2:TGID_Z_EN: 0
; COMPUTE_PGM_RSRC2:TIDIG_COMP_CNT: 1
	.section	.text._ZN9rocsparseL31bsrmm_large_blockdim_kernel_extILj8ELj8ELj2EiiddddEEvb20rocsparse_direction_T3_S2_llNS_24const_host_device_scalarIT7_EEPKT2_PKS2_PKT4_S2_PKT5_llS5_PT6_ll16rocsparse_order_21rocsparse_index_base_b,"axG",@progbits,_ZN9rocsparseL31bsrmm_large_blockdim_kernel_extILj8ELj8ELj2EiiddddEEvb20rocsparse_direction_T3_S2_llNS_24const_host_device_scalarIT7_EEPKT2_PKS2_PKT4_S2_PKT5_llS5_PT6_ll16rocsparse_order_21rocsparse_index_base_b,comdat
	.globl	_ZN9rocsparseL31bsrmm_large_blockdim_kernel_extILj8ELj8ELj2EiiddddEEvb20rocsparse_direction_T3_S2_llNS_24const_host_device_scalarIT7_EEPKT2_PKS2_PKT4_S2_PKT5_llS5_PT6_ll16rocsparse_order_21rocsparse_index_base_b ; -- Begin function _ZN9rocsparseL31bsrmm_large_blockdim_kernel_extILj8ELj8ELj2EiiddddEEvb20rocsparse_direction_T3_S2_llNS_24const_host_device_scalarIT7_EEPKT2_PKS2_PKT4_S2_PKT5_llS5_PT6_ll16rocsparse_order_21rocsparse_index_base_b
	.p2align	8
	.type	_ZN9rocsparseL31bsrmm_large_blockdim_kernel_extILj8ELj8ELj2EiiddddEEvb20rocsparse_direction_T3_S2_llNS_24const_host_device_scalarIT7_EEPKT2_PKS2_PKT4_S2_PKT5_llS5_PT6_ll16rocsparse_order_21rocsparse_index_base_b,@function
_ZN9rocsparseL31bsrmm_large_blockdim_kernel_extILj8ELj8ELj2EiiddddEEvb20rocsparse_direction_T3_S2_llNS_24const_host_device_scalarIT7_EEPKT2_PKS2_PKT4_S2_PKT5_llS5_PT6_ll16rocsparse_order_21rocsparse_index_base_b: ; @_ZN9rocsparseL31bsrmm_large_blockdim_kernel_extILj8ELj8ELj2EiiddddEEvb20rocsparse_direction_T3_S2_llNS_24const_host_device_scalarIT7_EEPKT2_PKS2_PKT4_S2_PKT5_llS5_PT6_ll16rocsparse_order_21rocsparse_index_base_b
; %bb.0:
	s_clause 0x2
	s_load_b96 s[20:22], s[0:1], 0x80
	s_load_b64 s[4:5], s[0:1], 0x20
	s_load_b64 s[2:3], s[0:1], 0x60
	s_wait_kmcnt 0x0
	s_bitcmp1_b32 s22, 0
	v_mov_b64_e32 v[4:5], s[4:5]
	s_cselect_b32 s6, -1, 0
	s_delay_alu instid0(SALU_CYCLE_1)
	s_and_b32 vcc_lo, exec_lo, s6
	s_xor_b32 s6, s6, -1
	s_cbranch_vccnz .LBB12_2
; %bb.1:
	v_mov_b32_e32 v1, 0
	flat_load_b64 v[4:5], v1, s[4:5]
.LBB12_2:
	v_mov_b64_e32 v[6:7], s[2:3]
	s_and_not1_b32 vcc_lo, exec_lo, s6
	s_cbranch_vccnz .LBB12_4
; %bb.3:
	s_wait_xcnt 0x0
	v_mov_b32_e32 v1, 0
	flat_load_b64 v[6:7], v1, s[2:3]
.LBB12_4:
	s_wait_loadcnt_dscnt 0x0
	v_cmp_neq_f64_e32 vcc_lo, 0, v[4:5]
	s_delay_alu instid0(VALU_DEP_2) | instskip(SKIP_1) | instid1(SALU_CYCLE_1)
	v_cmp_neq_f64_e64 s2, 1.0, v[6:7]
	s_or_b32 s2, vcc_lo, s2
	s_and_saveexec_b32 s3, s2
	s_cbranch_execz .LBB12_51
; %bb.5:
	s_clause 0x1
	s_load_b128 s[8:11], s[0:1], 0x0
	s_load_b64 s[2:3], s[0:1], 0x28
	s_bfe_u32 s4, ttmp6, 0x4000c
	s_and_b32 s5, ttmp6, 15
	s_add_co_i32 s4, s4, 1
	s_mov_b32 s25, 0
	s_mul_i32 s6, ttmp9, s4
	s_getreg_b32 s4, hwreg(HW_REG_IB_STS2, 6, 4)
	s_add_co_i32 s5, s5, s6
	s_cmp_eq_u32 s4, 0
	s_mov_b32 s22, 0
	s_cselect_b32 s6, ttmp9, s5
	s_wait_kmcnt 0x0
	s_cmp_lt_i32 s6, s10
	s_cselect_b32 s24, -1, 0
	s_cmp_ge_i32 s6, s10
	s_cbranch_scc1 .LBB12_7
; %bb.6:
	s_ashr_i32 s7, s6, 31
	s_delay_alu instid0(SALU_CYCLE_1) | instskip(NEXT) | instid1(SALU_CYCLE_1)
	s_lshl_b64 s[12:13], s[6:7], 2
	s_add_nc_u64 s[12:13], s[2:3], s[12:13]
	s_load_b32 s5, s[12:13], 0x0
	s_wait_kmcnt 0x0
	s_sub_co_i32 s22, s5, s21
.LBB12_7:
	s_and_not1_b32 vcc_lo, exec_lo, s24
	s_cbranch_vccnz .LBB12_9
; %bb.8:
	s_ashr_i32 s7, s6, 31
	s_delay_alu instid0(SALU_CYCLE_1) | instskip(NEXT) | instid1(SALU_CYCLE_1)
	s_lshl_b64 s[12:13], s[6:7], 2
	s_add_nc_u64 s[2:3], s[2:3], s[12:13]
	s_load_b32 s2, s[2:3], 0x4
	s_wait_kmcnt 0x0
	s_sub_co_i32 s25, s2, s21
.LBB12_9:
	s_bfe_u32 s2, ttmp6, 0x40010
	s_bfe_u32 s3, ttmp6, 0x40004
	s_add_co_i32 s2, s2, 1
	s_load_b32 s7, s[0:1], 0x40
	s_mul_i32 s2, ttmp7, s2
	v_bfe_u32 v2, v0, 10, 10
	s_add_co_i32 s3, s3, s2
	s_cmp_eq_u32 s4, 0
	v_and_b32_e32 v20, 0x3ff, v0
	s_cselect_b32 s2, ttmp7, s3
	s_cmp_ge_i32 s22, s25
	v_lshl_add_u32 v8, s2, 4, v2
	s_delay_alu instid0(VALU_DEP_1) | instskip(SKIP_1) | instid1(VALU_DEP_2)
	v_add_nc_u32_e32 v0, 8, v8
	v_cmp_gt_i32_e64 s2, s11, v8
	v_cmp_gt_i32_e64 s3, s11, v0
	s_wait_kmcnt 0x0
	v_cmp_gt_i32_e32 vcc_lo, s7, v20
	s_cbranch_scc1 .LBB12_27
; %bb.10:
	s_clause 0x1
	s_load_b128 s[12:15], s[0:1], 0x48
	s_load_b128 s[16:19], s[0:1], 0x30
	v_dual_ashrrev_i32 v9, 31, v8 :: v_dual_lshlrev_b32 v21, 6, v2
	v_dual_mov_b32 v10, 0 :: v_dual_ashrrev_i32 v1, 31, v0
	v_cmp_gt_i32_e64 s4, s7, v2
	v_mad_u32 v3, s7, v2, v20
	v_mad_u32 v11, s7, v20, v2
	v_lshl_add_u32 v16, v2, 3, 0x400
	v_dual_lshlrev_b32 v17, 3, v20 :: v_dual_lshlrev_b32 v18, 6, v20
	s_and_b32 s10, vcc_lo, s4
	s_bitcmp1_b32 s8, 0
	v_add_nc_u32_e32 v24, 0x200, v21
	s_cselect_b32 s4, -1, 0
	s_cmp_eq_u32 s9, 0
	v_dual_mov_b32 v2, v10 :: v_dual_add_nc_u32 v23, 0x400, v18
	s_cselect_b32 s5, -1, 0
	s_wait_kmcnt 0x0
	v_mul_u64_e32 v[12:13], s[14:15], v[8:9]
	v_mul_u64_e32 v[14:15], s[14:15], v[0:1]
	v_dual_cndmask_b32 v22, v3, v11, s5 :: v_dual_mov_b32 v11, v10
	v_dual_mov_b32 v3, v10 :: v_dual_add_nc_u32 v25, v17, v21
	v_add_nc_u32_e32 v26, v16, v18
	s_mul_i32 s5, s7, s7
	s_branch .LBB12_13
.LBB12_11:                              ;   in Loop: Header=BB12_13 Depth=1
	s_or_b32 exec_lo, exec_lo, s9
.LBB12_12:                              ;   in Loop: Header=BB12_13 Depth=1
	s_delay_alu instid0(SALU_CYCLE_1) | instskip(SKIP_1) | instid1(SALU_CYCLE_1)
	s_or_b32 exec_lo, exec_lo, s8
	s_add_co_i32 s22, s22, 1
	s_cmp_ge_i32 s22, s25
	s_barrier_signal -1
	s_barrier_wait -1
	s_cbranch_scc1 .LBB12_28
.LBB12_13:                              ; =>This Loop Header: Depth=1
                                        ;     Child Loop BB12_23 Depth 2
                                        ;     Child Loop BB12_26 Depth 2
	s_and_saveexec_b32 s8, vcc_lo
	s_cbranch_execz .LBB12_18
; %bb.14:                               ;   in Loop: Header=BB12_13 Depth=1
	s_ashr_i32 s23, s22, 31
	s_delay_alu instid0(SALU_CYCLE_1) | instskip(NEXT) | instid1(SALU_CYCLE_1)
	s_lshl_b64 s[26:27], s[22:23], 2
	s_add_nc_u64 s[26:27], s[16:17], s[26:27]
	s_load_b32 s9, s[26:27], 0x0
	s_wait_kmcnt 0x0
	s_sub_co_i32 s9, s9, s21
	s_delay_alu instid0(SALU_CYCLE_1) | instskip(NEXT) | instid1(VALU_DEP_1)
	v_mad_u32 v18, s9, s7, v20
	v_ashrrev_i32_e32 v19, 31, v18
	s_delay_alu instid0(VALU_DEP_1) | instskip(SKIP_1) | instid1(VALU_DEP_2)
	v_mul_u64_e32 v[16:17], s[14:15], v[18:19]
	v_lshl_add_u64 v[18:19], v[18:19], 3, s[12:13]
	v_lshl_add_u64 v[16:17], v[16:17], 3, s[12:13]
	s_and_saveexec_b32 s9, s2
	s_cbranch_execz .LBB12_16
; %bb.15:                               ;   in Loop: Header=BB12_13 Depth=1
	s_delay_alu instid0(VALU_DEP_1) | instskip(SKIP_1) | instid1(VALU_DEP_1)
	v_lshl_add_u64 v[28:29], v[8:9], 3, v[16:17]
	v_lshl_add_u64 v[30:31], v[12:13], 3, v[18:19]
	v_dual_cndmask_b32 v29, v29, v31, s4 :: v_dual_cndmask_b32 v28, v28, v30, s4
	global_load_b64 v[28:29], v[28:29], off
	s_wait_loadcnt 0x0
	ds_store_b64 v25, v[28:29]
.LBB12_16:                              ;   in Loop: Header=BB12_13 Depth=1
	s_or_b32 exec_lo, exec_lo, s9
	s_delay_alu instid0(SALU_CYCLE_1)
	s_and_b32 exec_lo, exec_lo, s3
	s_cbranch_execz .LBB12_18
; %bb.17:                               ;   in Loop: Header=BB12_13 Depth=1
	v_lshl_add_u64 v[18:19], v[14:15], 3, v[18:19]
	v_lshl_add_u64 v[16:17], v[0:1], 3, v[16:17]
	s_delay_alu instid0(VALU_DEP_1)
	v_dual_cndmask_b32 v17, v17, v19, s4 :: v_dual_cndmask_b32 v16, v16, v18, s4
	global_load_b64 v[16:17], v[16:17], off
	s_wait_loadcnt 0x0
	ds_store_b64 v25, v[16:17] offset:512
.LBB12_18:                              ;   in Loop: Header=BB12_13 Depth=1
	s_or_b32 exec_lo, exec_lo, s8
	s_and_saveexec_b32 s8, s10
	s_cbranch_execz .LBB12_20
; %bb.19:                               ;   in Loop: Header=BB12_13 Depth=1
	v_mad_u32 v16, s5, s22, v22
	global_load_b64 v[16:17], v16, s[18:19] scale_offset
	s_wait_loadcnt 0x0
	ds_store_b64 v26, v[16:17]
.LBB12_20:                              ;   in Loop: Header=BB12_13 Depth=1
	s_or_b32 exec_lo, exec_lo, s8
	s_wait_dscnt 0x0
	s_barrier_signal -1
	s_barrier_wait -1
	s_and_saveexec_b32 s8, vcc_lo
	s_cbranch_execz .LBB12_12
; %bb.21:                               ;   in Loop: Header=BB12_13 Depth=1
	s_and_saveexec_b32 s9, s2
	s_cbranch_execz .LBB12_24
; %bb.22:                               ;   in Loop: Header=BB12_13 Depth=1
	v_dual_mov_b32 v16, v23 :: v_dual_mov_b32 v17, v21
	s_mov_b32 s23, s7
.LBB12_23:                              ;   Parent Loop BB12_13 Depth=1
                                        ; =>  This Inner Loop Header: Depth=2
	ds_load_b64 v[18:19], v16
	ds_load_b64 v[28:29], v17
	v_dual_add_nc_u32 v17, 8, v17 :: v_dual_add_nc_u32 v16, 8, v16
	s_add_co_i32 s23, s23, -1
	s_delay_alu instid0(SALU_CYCLE_1)
	s_cmp_lg_u32 s23, 0
	s_wait_dscnt 0x0
	v_fmac_f64_e32 v[10:11], v[18:19], v[28:29]
	s_cbranch_scc1 .LBB12_23
.LBB12_24:                              ;   in Loop: Header=BB12_13 Depth=1
	s_or_b32 exec_lo, exec_lo, s9
	s_and_saveexec_b32 s9, s3
	s_cbranch_execz .LBB12_11
; %bb.25:                               ;   in Loop: Header=BB12_13 Depth=1
	v_dual_mov_b32 v16, v23 :: v_dual_mov_b32 v17, v24
	s_mov_b32 s23, s7
.LBB12_26:                              ;   Parent Loop BB12_13 Depth=1
                                        ; =>  This Inner Loop Header: Depth=2
	ds_load_b64 v[18:19], v16
	ds_load_b64 v[28:29], v17
	v_dual_add_nc_u32 v17, 8, v17 :: v_dual_add_nc_u32 v16, 8, v16
	s_add_co_i32 s23, s23, -1
	s_delay_alu instid0(SALU_CYCLE_1)
	s_cmp_lg_u32 s23, 0
	s_wait_dscnt 0x0
	v_fmac_f64_e32 v[2:3], v[18:19], v[28:29]
	s_cbranch_scc1 .LBB12_26
	s_branch .LBB12_11
.LBB12_27:
	v_mov_b32_e32 v10, 0
	s_delay_alu instid0(VALU_DEP_1)
	v_dual_mov_b32 v11, v10 :: v_dual_mov_b32 v2, v10
	v_mov_b32_e32 v3, v10
.LBB12_28:
	s_load_b64 s[4:5], s[0:1], 0x68
	s_and_b32 s2, s24, vcc_lo
	s_delay_alu instid0(SALU_CYCLE_1)
	s_and_b32 exec_lo, exec_lo, s2
	s_cbranch_execz .LBB12_51
; %bb.29:
	s_load_b64 s[2:3], s[0:1], 0x70
	v_mad_u32 v12, s7, s6, v20
	s_wait_xcnt 0x0
	v_cmp_neq_f64_e64 s0, 0, v[6:7]
	s_cmp_lg_u32 s20, 1
	s_cselect_b32 s1, -1, 0
	v_ashrrev_i32_e32 v13, 31, v12
	s_wait_kmcnt 0x0
	s_delay_alu instid0(VALU_DEP_1) | instskip(SKIP_1) | instid1(VALU_DEP_2)
	v_mul_u64_e32 v[14:15], s[2:3], v[12:13]
	v_lshl_add_u64 v[12:13], v[12:13], 3, s[4:5]
	v_lshl_add_u64 v[14:15], v[14:15], 3, s[4:5]
	s_mov_b32 s4, exec_lo
	v_cmpx_gt_i32_e64 s11, v8
	s_cbranch_execz .LBB12_40
; %bb.30:
	v_ashrrev_i32_e32 v9, 31, v8
	s_and_saveexec_b32 s5, s0
	s_delay_alu instid0(SALU_CYCLE_1)
	s_xor_b32 s5, exec_lo, s5
	s_cbranch_execz .LBB12_35
; %bb.31:
	s_and_b32 vcc_lo, exec_lo, s1
	s_mov_b32 s6, -1
	s_cbranch_vccz .LBB12_33
; %bb.32:
	v_lshl_add_u64 v[16:17], v[8:9], 3, v[14:15]
	v_mul_f64_e32 v[20:21], v[4:5], v[10:11]
	s_mov_b32 s6, 0
	global_load_b64 v[18:19], v[16:17], off
	s_wait_loadcnt 0x0
	v_fmac_f64_e32 v[20:21], v[6:7], v[18:19]
	global_store_b64 v[16:17], v[20:21], off
.LBB12_33:
	s_and_not1_b32 vcc_lo, exec_lo, s6
	s_cbranch_vccnz .LBB12_35
; %bb.34:
	v_mul_u64_e32 v[8:9], s[2:3], v[8:9]
	v_mul_f64_e32 v[18:19], v[4:5], v[10:11]
	s_delay_alu instid0(VALU_DEP_2)
	v_lshl_add_u64 v[8:9], v[8:9], 3, v[12:13]
	global_load_b64 v[16:17], v[8:9], off
	s_wait_loadcnt 0x0
	v_fmac_f64_e32 v[18:19], v[6:7], v[16:17]
	global_store_b64 v[8:9], v[18:19], off
                                        ; implicit-def: $vgpr8
.LBB12_35:
	s_wait_xcnt 0x0
	s_and_not1_saveexec_b32 s5, s5
	s_cbranch_execz .LBB12_40
; %bb.36:
	v_mul_f64_e32 v[10:11], v[4:5], v[10:11]
	s_and_b32 vcc_lo, exec_lo, s1
	s_mov_b32 s5, -1
	s_cbranch_vccz .LBB12_38
; %bb.37:
	v_lshl_add_u64 v[16:17], v[8:9], 3, v[14:15]
	s_mov_b32 s5, 0
	global_store_b64 v[16:17], v[10:11], off
.LBB12_38:
	s_and_not1_b32 vcc_lo, exec_lo, s5
	s_cbranch_vccnz .LBB12_40
; %bb.39:
	v_mul_u64_e32 v[8:9], s[2:3], v[8:9]
	s_delay_alu instid0(VALU_DEP_1)
	v_lshl_add_u64 v[8:9], v[8:9], 3, v[12:13]
	global_store_b64 v[8:9], v[10:11], off
.LBB12_40:
	s_wait_xcnt 0x0
	s_or_b32 exec_lo, exec_lo, s4
	v_cmp_gt_i32_e32 vcc_lo, s11, v0
	s_and_b32 exec_lo, exec_lo, vcc_lo
	s_cbranch_execz .LBB12_51
; %bb.41:
	v_ashrrev_i32_e32 v1, 31, v0
	v_cndmask_b32_e64 v8, 0, 1, s1
	s_and_saveexec_b32 s1, s0
	s_delay_alu instid0(SALU_CYCLE_1)
	s_xor_b32 s0, exec_lo, s1
	s_cbranch_execz .LBB12_46
; %bb.42:
	s_delay_alu instid0(VALU_DEP_1)
	v_cmp_ne_u32_e32 vcc_lo, 1, v8
	s_mov_b32 s1, -1
	s_cbranch_vccnz .LBB12_44
; %bb.43:
	v_lshl_add_u64 v[8:9], v[0:1], 3, v[14:15]
	v_mul_f64_e32 v[14:15], v[4:5], v[2:3]
	s_mov_b32 s1, 0
	global_load_b64 v[10:11], v[8:9], off
	s_wait_loadcnt 0x0
	v_fmac_f64_e32 v[14:15], v[6:7], v[10:11]
	global_store_b64 v[8:9], v[14:15], off
.LBB12_44:
	s_and_not1_b32 vcc_lo, exec_lo, s1
                                        ; implicit-def: $vgpr8
                                        ; implicit-def: $vgpr14_vgpr15
	s_cbranch_vccnz .LBB12_46
; %bb.45:
	v_mul_u64_e32 v[0:1], s[2:3], v[0:1]
	v_mul_f64_e32 v[2:3], v[4:5], v[2:3]
                                        ; implicit-def: $vgpr4_vgpr5
                                        ; implicit-def: $vgpr14_vgpr15
	s_delay_alu instid0(VALU_DEP_2)
	v_lshl_add_u64 v[0:1], v[0:1], 3, v[12:13]
                                        ; implicit-def: $vgpr12_vgpr13
	global_load_b64 v[8:9], v[0:1], off
	s_wait_loadcnt 0x0
	v_fmac_f64_e32 v[2:3], v[6:7], v[8:9]
                                        ; implicit-def: $vgpr8
	global_store_b64 v[0:1], v[2:3], off
                                        ; implicit-def: $vgpr0_vgpr1_vgpr2_vgpr3
                                        ; implicit-def: $vgpr0
.LBB12_46:
	s_wait_xcnt 0x0
	s_and_not1_saveexec_b32 s0, s0
	s_cbranch_execz .LBB12_51
; %bb.47:
	v_mul_f64_e32 v[2:3], v[4:5], v[2:3]
	v_cmp_ne_u32_e32 vcc_lo, 1, v8
	s_mov_b32 s0, -1
	s_cbranch_vccnz .LBB12_49
; %bb.48:
	v_lshl_add_u64 v[4:5], v[0:1], 3, v[14:15]
	s_mov_b32 s0, 0
	global_store_b64 v[4:5], v[2:3], off
.LBB12_49:
	s_and_not1_b32 vcc_lo, exec_lo, s0
	s_cbranch_vccnz .LBB12_51
; %bb.50:
	v_mul_u64_e32 v[0:1], s[2:3], v[0:1]
	s_delay_alu instid0(VALU_DEP_1)
	v_lshl_add_u64 v[0:1], v[0:1], 3, v[12:13]
	global_store_b64 v[0:1], v[2:3], off
.LBB12_51:
	s_endpgm
	.section	.rodata,"a",@progbits
	.p2align	6, 0x0
	.amdhsa_kernel _ZN9rocsparseL31bsrmm_large_blockdim_kernel_extILj8ELj8ELj2EiiddddEEvb20rocsparse_direction_T3_S2_llNS_24const_host_device_scalarIT7_EEPKT2_PKS2_PKT4_S2_PKT5_llS5_PT6_ll16rocsparse_order_21rocsparse_index_base_b
		.amdhsa_group_segment_fixed_size 1536
		.amdhsa_private_segment_fixed_size 0
		.amdhsa_kernarg_size 140
		.amdhsa_user_sgpr_count 2
		.amdhsa_user_sgpr_dispatch_ptr 0
		.amdhsa_user_sgpr_queue_ptr 0
		.amdhsa_user_sgpr_kernarg_segment_ptr 1
		.amdhsa_user_sgpr_dispatch_id 0
		.amdhsa_user_sgpr_kernarg_preload_length 0
		.amdhsa_user_sgpr_kernarg_preload_offset 0
		.amdhsa_user_sgpr_private_segment_size 0
		.amdhsa_wavefront_size32 1
		.amdhsa_uses_dynamic_stack 0
		.amdhsa_enable_private_segment 0
		.amdhsa_system_sgpr_workgroup_id_x 1
		.amdhsa_system_sgpr_workgroup_id_y 1
		.amdhsa_system_sgpr_workgroup_id_z 0
		.amdhsa_system_sgpr_workgroup_info 0
		.amdhsa_system_vgpr_workitem_id 1
		.amdhsa_next_free_vgpr 32
		.amdhsa_next_free_sgpr 28
		.amdhsa_named_barrier_count 0
		.amdhsa_reserve_vcc 1
		.amdhsa_float_round_mode_32 0
		.amdhsa_float_round_mode_16_64 0
		.amdhsa_float_denorm_mode_32 3
		.amdhsa_float_denorm_mode_16_64 3
		.amdhsa_fp16_overflow 0
		.amdhsa_memory_ordered 1
		.amdhsa_forward_progress 1
		.amdhsa_inst_pref_size 14
		.amdhsa_round_robin_scheduling 0
		.amdhsa_exception_fp_ieee_invalid_op 0
		.amdhsa_exception_fp_denorm_src 0
		.amdhsa_exception_fp_ieee_div_zero 0
		.amdhsa_exception_fp_ieee_overflow 0
		.amdhsa_exception_fp_ieee_underflow 0
		.amdhsa_exception_fp_ieee_inexact 0
		.amdhsa_exception_int_div_zero 0
	.end_amdhsa_kernel
	.section	.text._ZN9rocsparseL31bsrmm_large_blockdim_kernel_extILj8ELj8ELj2EiiddddEEvb20rocsparse_direction_T3_S2_llNS_24const_host_device_scalarIT7_EEPKT2_PKS2_PKT4_S2_PKT5_llS5_PT6_ll16rocsparse_order_21rocsparse_index_base_b,"axG",@progbits,_ZN9rocsparseL31bsrmm_large_blockdim_kernel_extILj8ELj8ELj2EiiddddEEvb20rocsparse_direction_T3_S2_llNS_24const_host_device_scalarIT7_EEPKT2_PKS2_PKT4_S2_PKT5_llS5_PT6_ll16rocsparse_order_21rocsparse_index_base_b,comdat
.Lfunc_end12:
	.size	_ZN9rocsparseL31bsrmm_large_blockdim_kernel_extILj8ELj8ELj2EiiddddEEvb20rocsparse_direction_T3_S2_llNS_24const_host_device_scalarIT7_EEPKT2_PKS2_PKT4_S2_PKT5_llS5_PT6_ll16rocsparse_order_21rocsparse_index_base_b, .Lfunc_end12-_ZN9rocsparseL31bsrmm_large_blockdim_kernel_extILj8ELj8ELj2EiiddddEEvb20rocsparse_direction_T3_S2_llNS_24const_host_device_scalarIT7_EEPKT2_PKS2_PKT4_S2_PKT5_llS5_PT6_ll16rocsparse_order_21rocsparse_index_base_b
                                        ; -- End function
	.set _ZN9rocsparseL31bsrmm_large_blockdim_kernel_extILj8ELj8ELj2EiiddddEEvb20rocsparse_direction_T3_S2_llNS_24const_host_device_scalarIT7_EEPKT2_PKS2_PKT4_S2_PKT5_llS5_PT6_ll16rocsparse_order_21rocsparse_index_base_b.num_vgpr, 32
	.set _ZN9rocsparseL31bsrmm_large_blockdim_kernel_extILj8ELj8ELj2EiiddddEEvb20rocsparse_direction_T3_S2_llNS_24const_host_device_scalarIT7_EEPKT2_PKS2_PKT4_S2_PKT5_llS5_PT6_ll16rocsparse_order_21rocsparse_index_base_b.num_agpr, 0
	.set _ZN9rocsparseL31bsrmm_large_blockdim_kernel_extILj8ELj8ELj2EiiddddEEvb20rocsparse_direction_T3_S2_llNS_24const_host_device_scalarIT7_EEPKT2_PKS2_PKT4_S2_PKT5_llS5_PT6_ll16rocsparse_order_21rocsparse_index_base_b.numbered_sgpr, 28
	.set _ZN9rocsparseL31bsrmm_large_blockdim_kernel_extILj8ELj8ELj2EiiddddEEvb20rocsparse_direction_T3_S2_llNS_24const_host_device_scalarIT7_EEPKT2_PKS2_PKT4_S2_PKT5_llS5_PT6_ll16rocsparse_order_21rocsparse_index_base_b.num_named_barrier, 0
	.set _ZN9rocsparseL31bsrmm_large_blockdim_kernel_extILj8ELj8ELj2EiiddddEEvb20rocsparse_direction_T3_S2_llNS_24const_host_device_scalarIT7_EEPKT2_PKS2_PKT4_S2_PKT5_llS5_PT6_ll16rocsparse_order_21rocsparse_index_base_b.private_seg_size, 0
	.set _ZN9rocsparseL31bsrmm_large_blockdim_kernel_extILj8ELj8ELj2EiiddddEEvb20rocsparse_direction_T3_S2_llNS_24const_host_device_scalarIT7_EEPKT2_PKS2_PKT4_S2_PKT5_llS5_PT6_ll16rocsparse_order_21rocsparse_index_base_b.uses_vcc, 1
	.set _ZN9rocsparseL31bsrmm_large_blockdim_kernel_extILj8ELj8ELj2EiiddddEEvb20rocsparse_direction_T3_S2_llNS_24const_host_device_scalarIT7_EEPKT2_PKS2_PKT4_S2_PKT5_llS5_PT6_ll16rocsparse_order_21rocsparse_index_base_b.uses_flat_scratch, 0
	.set _ZN9rocsparseL31bsrmm_large_blockdim_kernel_extILj8ELj8ELj2EiiddddEEvb20rocsparse_direction_T3_S2_llNS_24const_host_device_scalarIT7_EEPKT2_PKS2_PKT4_S2_PKT5_llS5_PT6_ll16rocsparse_order_21rocsparse_index_base_b.has_dyn_sized_stack, 0
	.set _ZN9rocsparseL31bsrmm_large_blockdim_kernel_extILj8ELj8ELj2EiiddddEEvb20rocsparse_direction_T3_S2_llNS_24const_host_device_scalarIT7_EEPKT2_PKS2_PKT4_S2_PKT5_llS5_PT6_ll16rocsparse_order_21rocsparse_index_base_b.has_recursion, 0
	.set _ZN9rocsparseL31bsrmm_large_blockdim_kernel_extILj8ELj8ELj2EiiddddEEvb20rocsparse_direction_T3_S2_llNS_24const_host_device_scalarIT7_EEPKT2_PKS2_PKT4_S2_PKT5_llS5_PT6_ll16rocsparse_order_21rocsparse_index_base_b.has_indirect_call, 0
	.section	.AMDGPU.csdata,"",@progbits
; Kernel info:
; codeLenInByte = 1668
; TotalNumSgprs: 30
; NumVgprs: 32
; ScratchSize: 0
; MemoryBound: 0
; FloatMode: 240
; IeeeMode: 1
; LDSByteSize: 1536 bytes/workgroup (compile time only)
; SGPRBlocks: 0
; VGPRBlocks: 1
; NumSGPRsForWavesPerEU: 30
; NumVGPRsForWavesPerEU: 32
; NamedBarCnt: 0
; Occupancy: 16
; WaveLimiterHint : 1
; COMPUTE_PGM_RSRC2:SCRATCH_EN: 0
; COMPUTE_PGM_RSRC2:USER_SGPR: 2
; COMPUTE_PGM_RSRC2:TRAP_HANDLER: 0
; COMPUTE_PGM_RSRC2:TGID_X_EN: 1
; COMPUTE_PGM_RSRC2:TGID_Y_EN: 1
; COMPUTE_PGM_RSRC2:TGID_Z_EN: 0
; COMPUTE_PGM_RSRC2:TIDIG_COMP_CNT: 1
	.section	.text._ZN9rocsparseL31bsrmm_large_blockdim_kernel_extILj4ELj16ELj2EiiddddEEvb20rocsparse_direction_T3_S2_llNS_24const_host_device_scalarIT7_EEPKT2_PKS2_PKT4_S2_PKT5_llS5_PT6_ll16rocsparse_order_21rocsparse_index_base_b,"axG",@progbits,_ZN9rocsparseL31bsrmm_large_blockdim_kernel_extILj4ELj16ELj2EiiddddEEvb20rocsparse_direction_T3_S2_llNS_24const_host_device_scalarIT7_EEPKT2_PKS2_PKT4_S2_PKT5_llS5_PT6_ll16rocsparse_order_21rocsparse_index_base_b,comdat
	.globl	_ZN9rocsparseL31bsrmm_large_blockdim_kernel_extILj4ELj16ELj2EiiddddEEvb20rocsparse_direction_T3_S2_llNS_24const_host_device_scalarIT7_EEPKT2_PKS2_PKT4_S2_PKT5_llS5_PT6_ll16rocsparse_order_21rocsparse_index_base_b ; -- Begin function _ZN9rocsparseL31bsrmm_large_blockdim_kernel_extILj4ELj16ELj2EiiddddEEvb20rocsparse_direction_T3_S2_llNS_24const_host_device_scalarIT7_EEPKT2_PKS2_PKT4_S2_PKT5_llS5_PT6_ll16rocsparse_order_21rocsparse_index_base_b
	.p2align	8
	.type	_ZN9rocsparseL31bsrmm_large_blockdim_kernel_extILj4ELj16ELj2EiiddddEEvb20rocsparse_direction_T3_S2_llNS_24const_host_device_scalarIT7_EEPKT2_PKS2_PKT4_S2_PKT5_llS5_PT6_ll16rocsparse_order_21rocsparse_index_base_b,@function
_ZN9rocsparseL31bsrmm_large_blockdim_kernel_extILj4ELj16ELj2EiiddddEEvb20rocsparse_direction_T3_S2_llNS_24const_host_device_scalarIT7_EEPKT2_PKS2_PKT4_S2_PKT5_llS5_PT6_ll16rocsparse_order_21rocsparse_index_base_b: ; @_ZN9rocsparseL31bsrmm_large_blockdim_kernel_extILj4ELj16ELj2EiiddddEEvb20rocsparse_direction_T3_S2_llNS_24const_host_device_scalarIT7_EEPKT2_PKS2_PKT4_S2_PKT5_llS5_PT6_ll16rocsparse_order_21rocsparse_index_base_b
; %bb.0:
	s_clause 0x2
	s_load_b96 s[20:22], s[0:1], 0x80
	s_load_b64 s[4:5], s[0:1], 0x20
	s_load_b64 s[2:3], s[0:1], 0x60
	s_wait_kmcnt 0x0
	s_bitcmp1_b32 s22, 0
	v_mov_b64_e32 v[4:5], s[4:5]
	s_cselect_b32 s6, -1, 0
	s_delay_alu instid0(SALU_CYCLE_1)
	s_and_b32 vcc_lo, exec_lo, s6
	s_xor_b32 s6, s6, -1
	s_cbranch_vccnz .LBB13_2
; %bb.1:
	v_mov_b32_e32 v1, 0
	flat_load_b64 v[4:5], v1, s[4:5]
.LBB13_2:
	v_mov_b64_e32 v[6:7], s[2:3]
	s_and_not1_b32 vcc_lo, exec_lo, s6
	s_cbranch_vccnz .LBB13_4
; %bb.3:
	s_wait_xcnt 0x0
	v_mov_b32_e32 v1, 0
	flat_load_b64 v[6:7], v1, s[2:3]
.LBB13_4:
	s_wait_loadcnt_dscnt 0x0
	v_cmp_neq_f64_e32 vcc_lo, 0, v[4:5]
	s_delay_alu instid0(VALU_DEP_2) | instskip(SKIP_1) | instid1(SALU_CYCLE_1)
	v_cmp_neq_f64_e64 s2, 1.0, v[6:7]
	s_or_b32 s2, vcc_lo, s2
	s_and_saveexec_b32 s3, s2
	s_cbranch_execz .LBB13_51
; %bb.5:
	s_clause 0x1
	s_load_b128 s[8:11], s[0:1], 0x0
	s_load_b64 s[2:3], s[0:1], 0x28
	s_bfe_u32 s4, ttmp6, 0x4000c
	s_and_b32 s5, ttmp6, 15
	s_add_co_i32 s4, s4, 1
	s_mov_b32 s25, 0
	s_mul_i32 s6, ttmp9, s4
	s_getreg_b32 s4, hwreg(HW_REG_IB_STS2, 6, 4)
	s_add_co_i32 s5, s5, s6
	s_cmp_eq_u32 s4, 0
	s_mov_b32 s22, 0
	s_cselect_b32 s6, ttmp9, s5
	s_wait_kmcnt 0x0
	s_cmp_lt_i32 s6, s10
	s_cselect_b32 s24, -1, 0
	s_cmp_ge_i32 s6, s10
	s_cbranch_scc1 .LBB13_7
; %bb.6:
	s_ashr_i32 s7, s6, 31
	s_delay_alu instid0(SALU_CYCLE_1) | instskip(NEXT) | instid1(SALU_CYCLE_1)
	s_lshl_b64 s[12:13], s[6:7], 2
	s_add_nc_u64 s[12:13], s[2:3], s[12:13]
	s_load_b32 s5, s[12:13], 0x0
	s_wait_kmcnt 0x0
	s_sub_co_i32 s22, s5, s21
.LBB13_7:
	s_and_not1_b32 vcc_lo, exec_lo, s24
	s_cbranch_vccnz .LBB13_9
; %bb.8:
	s_ashr_i32 s7, s6, 31
	s_delay_alu instid0(SALU_CYCLE_1) | instskip(NEXT) | instid1(SALU_CYCLE_1)
	s_lshl_b64 s[12:13], s[6:7], 2
	s_add_nc_u64 s[2:3], s[2:3], s[12:13]
	s_load_b32 s2, s[2:3], 0x4
	s_wait_kmcnt 0x0
	s_sub_co_i32 s25, s2, s21
.LBB13_9:
	s_bfe_u32 s2, ttmp6, 0x40010
	s_bfe_u32 s3, ttmp6, 0x40004
	s_add_co_i32 s2, s2, 1
	s_load_b32 s7, s[0:1], 0x40
	s_mul_i32 s2, ttmp7, s2
	v_bfe_u32 v2, v0, 10, 10
	s_add_co_i32 s3, s3, s2
	s_cmp_eq_u32 s4, 0
	v_and_b32_e32 v20, 0x3ff, v0
	s_cselect_b32 s2, ttmp7, s3
	s_cmp_ge_i32 s22, s25
	v_lshl_add_u32 v8, s2, 5, v2
	s_delay_alu instid0(VALU_DEP_1) | instskip(SKIP_1) | instid1(VALU_DEP_2)
	v_add_nc_u32_e32 v0, 16, v8
	v_cmp_gt_i32_e64 s2, s11, v8
	v_cmp_gt_i32_e64 s3, s11, v0
	s_wait_kmcnt 0x0
	v_cmp_gt_i32_e32 vcc_lo, s7, v20
	s_cbranch_scc1 .LBB13_27
; %bb.10:
	s_clause 0x1
	s_load_b128 s[12:15], s[0:1], 0x48
	s_load_b128 s[16:19], s[0:1], 0x30
	v_dual_ashrrev_i32 v9, 31, v8 :: v_dual_lshlrev_b32 v21, 5, v2
	v_dual_mov_b32 v10, 0 :: v_dual_ashrrev_i32 v1, 31, v0
	v_cmp_gt_i32_e64 s4, s7, v2
	v_mad_u32 v3, s7, v2, v20
	v_mad_u32 v11, s7, v20, v2
	v_lshl_add_u32 v16, v2, 3, 0x400
	v_dual_lshlrev_b32 v17, 3, v20 :: v_dual_lshlrev_b32 v18, 5, v20
	s_and_b32 s10, vcc_lo, s4
	s_bitcmp1_b32 s8, 0
	v_add_nc_u32_e32 v24, 0x200, v21
	s_cselect_b32 s4, -1, 0
	s_cmp_eq_u32 s9, 0
	v_dual_mov_b32 v2, v10 :: v_dual_add_nc_u32 v23, 0x400, v18
	s_cselect_b32 s5, -1, 0
	s_wait_kmcnt 0x0
	v_mul_u64_e32 v[12:13], s[14:15], v[8:9]
	v_mul_u64_e32 v[14:15], s[14:15], v[0:1]
	v_dual_cndmask_b32 v22, v3, v11, s5 :: v_dual_mov_b32 v11, v10
	v_dual_mov_b32 v3, v10 :: v_dual_add_nc_u32 v25, v17, v21
	v_add_nc_u32_e32 v26, v16, v18
	s_mul_i32 s5, s7, s7
	s_branch .LBB13_13
.LBB13_11:                              ;   in Loop: Header=BB13_13 Depth=1
	s_or_b32 exec_lo, exec_lo, s9
.LBB13_12:                              ;   in Loop: Header=BB13_13 Depth=1
	s_delay_alu instid0(SALU_CYCLE_1) | instskip(SKIP_1) | instid1(SALU_CYCLE_1)
	s_or_b32 exec_lo, exec_lo, s8
	s_add_co_i32 s22, s22, 1
	s_cmp_ge_i32 s22, s25
	s_barrier_signal -1
	s_barrier_wait -1
	s_cbranch_scc1 .LBB13_28
.LBB13_13:                              ; =>This Loop Header: Depth=1
                                        ;     Child Loop BB13_23 Depth 2
                                        ;     Child Loop BB13_26 Depth 2
	s_and_saveexec_b32 s8, vcc_lo
	s_cbranch_execz .LBB13_18
; %bb.14:                               ;   in Loop: Header=BB13_13 Depth=1
	s_ashr_i32 s23, s22, 31
	s_delay_alu instid0(SALU_CYCLE_1) | instskip(NEXT) | instid1(SALU_CYCLE_1)
	s_lshl_b64 s[26:27], s[22:23], 2
	s_add_nc_u64 s[26:27], s[16:17], s[26:27]
	s_load_b32 s9, s[26:27], 0x0
	s_wait_kmcnt 0x0
	s_sub_co_i32 s9, s9, s21
	s_delay_alu instid0(SALU_CYCLE_1) | instskip(NEXT) | instid1(VALU_DEP_1)
	v_mad_u32 v18, s9, s7, v20
	v_ashrrev_i32_e32 v19, 31, v18
	s_delay_alu instid0(VALU_DEP_1) | instskip(SKIP_1) | instid1(VALU_DEP_2)
	v_mul_u64_e32 v[16:17], s[14:15], v[18:19]
	v_lshl_add_u64 v[18:19], v[18:19], 3, s[12:13]
	v_lshl_add_u64 v[16:17], v[16:17], 3, s[12:13]
	s_and_saveexec_b32 s9, s2
	s_cbranch_execz .LBB13_16
; %bb.15:                               ;   in Loop: Header=BB13_13 Depth=1
	s_delay_alu instid0(VALU_DEP_1) | instskip(SKIP_1) | instid1(VALU_DEP_1)
	v_lshl_add_u64 v[28:29], v[8:9], 3, v[16:17]
	v_lshl_add_u64 v[30:31], v[12:13], 3, v[18:19]
	v_dual_cndmask_b32 v29, v29, v31, s4 :: v_dual_cndmask_b32 v28, v28, v30, s4
	global_load_b64 v[28:29], v[28:29], off
	s_wait_loadcnt 0x0
	ds_store_b64 v25, v[28:29]
.LBB13_16:                              ;   in Loop: Header=BB13_13 Depth=1
	s_or_b32 exec_lo, exec_lo, s9
	s_delay_alu instid0(SALU_CYCLE_1)
	s_and_b32 exec_lo, exec_lo, s3
	s_cbranch_execz .LBB13_18
; %bb.17:                               ;   in Loop: Header=BB13_13 Depth=1
	v_lshl_add_u64 v[18:19], v[14:15], 3, v[18:19]
	v_lshl_add_u64 v[16:17], v[0:1], 3, v[16:17]
	s_delay_alu instid0(VALU_DEP_1)
	v_dual_cndmask_b32 v17, v17, v19, s4 :: v_dual_cndmask_b32 v16, v16, v18, s4
	global_load_b64 v[16:17], v[16:17], off
	s_wait_loadcnt 0x0
	ds_store_b64 v25, v[16:17] offset:512
.LBB13_18:                              ;   in Loop: Header=BB13_13 Depth=1
	s_or_b32 exec_lo, exec_lo, s8
	s_and_saveexec_b32 s8, s10
	s_cbranch_execz .LBB13_20
; %bb.19:                               ;   in Loop: Header=BB13_13 Depth=1
	v_mad_u32 v16, s5, s22, v22
	global_load_b64 v[16:17], v16, s[18:19] scale_offset
	s_wait_loadcnt 0x0
	ds_store_b64 v26, v[16:17]
.LBB13_20:                              ;   in Loop: Header=BB13_13 Depth=1
	s_or_b32 exec_lo, exec_lo, s8
	s_wait_dscnt 0x0
	s_barrier_signal -1
	s_barrier_wait -1
	s_and_saveexec_b32 s8, vcc_lo
	s_cbranch_execz .LBB13_12
; %bb.21:                               ;   in Loop: Header=BB13_13 Depth=1
	s_and_saveexec_b32 s9, s2
	s_cbranch_execz .LBB13_24
; %bb.22:                               ;   in Loop: Header=BB13_13 Depth=1
	v_dual_mov_b32 v16, v23 :: v_dual_mov_b32 v17, v21
	s_mov_b32 s23, s7
.LBB13_23:                              ;   Parent Loop BB13_13 Depth=1
                                        ; =>  This Inner Loop Header: Depth=2
	ds_load_b64 v[18:19], v16
	ds_load_b64 v[28:29], v17
	v_dual_add_nc_u32 v17, 8, v17 :: v_dual_add_nc_u32 v16, 8, v16
	s_add_co_i32 s23, s23, -1
	s_delay_alu instid0(SALU_CYCLE_1)
	s_cmp_lg_u32 s23, 0
	s_wait_dscnt 0x0
	v_fmac_f64_e32 v[10:11], v[18:19], v[28:29]
	s_cbranch_scc1 .LBB13_23
.LBB13_24:                              ;   in Loop: Header=BB13_13 Depth=1
	s_or_b32 exec_lo, exec_lo, s9
	s_and_saveexec_b32 s9, s3
	s_cbranch_execz .LBB13_11
; %bb.25:                               ;   in Loop: Header=BB13_13 Depth=1
	v_dual_mov_b32 v16, v23 :: v_dual_mov_b32 v17, v24
	s_mov_b32 s23, s7
.LBB13_26:                              ;   Parent Loop BB13_13 Depth=1
                                        ; =>  This Inner Loop Header: Depth=2
	ds_load_b64 v[18:19], v16
	ds_load_b64 v[28:29], v17
	v_dual_add_nc_u32 v17, 8, v17 :: v_dual_add_nc_u32 v16, 8, v16
	s_add_co_i32 s23, s23, -1
	s_delay_alu instid0(SALU_CYCLE_1)
	s_cmp_lg_u32 s23, 0
	s_wait_dscnt 0x0
	v_fmac_f64_e32 v[2:3], v[18:19], v[28:29]
	s_cbranch_scc1 .LBB13_26
	s_branch .LBB13_11
.LBB13_27:
	v_mov_b32_e32 v10, 0
	s_delay_alu instid0(VALU_DEP_1)
	v_dual_mov_b32 v11, v10 :: v_dual_mov_b32 v2, v10
	v_mov_b32_e32 v3, v10
.LBB13_28:
	s_load_b64 s[4:5], s[0:1], 0x68
	s_and_b32 s2, s24, vcc_lo
	s_delay_alu instid0(SALU_CYCLE_1)
	s_and_b32 exec_lo, exec_lo, s2
	s_cbranch_execz .LBB13_51
; %bb.29:
	s_load_b64 s[2:3], s[0:1], 0x70
	v_mad_u32 v12, s7, s6, v20
	s_wait_xcnt 0x0
	v_cmp_neq_f64_e64 s0, 0, v[6:7]
	s_cmp_lg_u32 s20, 1
	s_cselect_b32 s1, -1, 0
	v_ashrrev_i32_e32 v13, 31, v12
	s_wait_kmcnt 0x0
	s_delay_alu instid0(VALU_DEP_1) | instskip(SKIP_1) | instid1(VALU_DEP_2)
	v_mul_u64_e32 v[14:15], s[2:3], v[12:13]
	v_lshl_add_u64 v[12:13], v[12:13], 3, s[4:5]
	v_lshl_add_u64 v[14:15], v[14:15], 3, s[4:5]
	s_mov_b32 s4, exec_lo
	v_cmpx_gt_i32_e64 s11, v8
	s_cbranch_execz .LBB13_40
; %bb.30:
	v_ashrrev_i32_e32 v9, 31, v8
	s_and_saveexec_b32 s5, s0
	s_delay_alu instid0(SALU_CYCLE_1)
	s_xor_b32 s5, exec_lo, s5
	s_cbranch_execz .LBB13_35
; %bb.31:
	s_and_b32 vcc_lo, exec_lo, s1
	s_mov_b32 s6, -1
	s_cbranch_vccz .LBB13_33
; %bb.32:
	v_lshl_add_u64 v[16:17], v[8:9], 3, v[14:15]
	v_mul_f64_e32 v[20:21], v[4:5], v[10:11]
	s_mov_b32 s6, 0
	global_load_b64 v[18:19], v[16:17], off
	s_wait_loadcnt 0x0
	v_fmac_f64_e32 v[20:21], v[6:7], v[18:19]
	global_store_b64 v[16:17], v[20:21], off
.LBB13_33:
	s_and_not1_b32 vcc_lo, exec_lo, s6
	s_cbranch_vccnz .LBB13_35
; %bb.34:
	v_mul_u64_e32 v[8:9], s[2:3], v[8:9]
	v_mul_f64_e32 v[18:19], v[4:5], v[10:11]
	s_delay_alu instid0(VALU_DEP_2)
	v_lshl_add_u64 v[8:9], v[8:9], 3, v[12:13]
	global_load_b64 v[16:17], v[8:9], off
	s_wait_loadcnt 0x0
	v_fmac_f64_e32 v[18:19], v[6:7], v[16:17]
	global_store_b64 v[8:9], v[18:19], off
                                        ; implicit-def: $vgpr8
.LBB13_35:
	s_wait_xcnt 0x0
	s_and_not1_saveexec_b32 s5, s5
	s_cbranch_execz .LBB13_40
; %bb.36:
	v_mul_f64_e32 v[10:11], v[4:5], v[10:11]
	s_and_b32 vcc_lo, exec_lo, s1
	s_mov_b32 s5, -1
	s_cbranch_vccz .LBB13_38
; %bb.37:
	v_lshl_add_u64 v[16:17], v[8:9], 3, v[14:15]
	s_mov_b32 s5, 0
	global_store_b64 v[16:17], v[10:11], off
.LBB13_38:
	s_and_not1_b32 vcc_lo, exec_lo, s5
	s_cbranch_vccnz .LBB13_40
; %bb.39:
	v_mul_u64_e32 v[8:9], s[2:3], v[8:9]
	s_delay_alu instid0(VALU_DEP_1)
	v_lshl_add_u64 v[8:9], v[8:9], 3, v[12:13]
	global_store_b64 v[8:9], v[10:11], off
.LBB13_40:
	s_wait_xcnt 0x0
	s_or_b32 exec_lo, exec_lo, s4
	v_cmp_gt_i32_e32 vcc_lo, s11, v0
	s_and_b32 exec_lo, exec_lo, vcc_lo
	s_cbranch_execz .LBB13_51
; %bb.41:
	v_ashrrev_i32_e32 v1, 31, v0
	v_cndmask_b32_e64 v8, 0, 1, s1
	s_and_saveexec_b32 s1, s0
	s_delay_alu instid0(SALU_CYCLE_1)
	s_xor_b32 s0, exec_lo, s1
	s_cbranch_execz .LBB13_46
; %bb.42:
	s_delay_alu instid0(VALU_DEP_1)
	v_cmp_ne_u32_e32 vcc_lo, 1, v8
	s_mov_b32 s1, -1
	s_cbranch_vccnz .LBB13_44
; %bb.43:
	v_lshl_add_u64 v[8:9], v[0:1], 3, v[14:15]
	v_mul_f64_e32 v[14:15], v[4:5], v[2:3]
	s_mov_b32 s1, 0
	global_load_b64 v[10:11], v[8:9], off
	s_wait_loadcnt 0x0
	v_fmac_f64_e32 v[14:15], v[6:7], v[10:11]
	global_store_b64 v[8:9], v[14:15], off
.LBB13_44:
	s_and_not1_b32 vcc_lo, exec_lo, s1
                                        ; implicit-def: $vgpr8
                                        ; implicit-def: $vgpr14_vgpr15
	s_cbranch_vccnz .LBB13_46
; %bb.45:
	v_mul_u64_e32 v[0:1], s[2:3], v[0:1]
	v_mul_f64_e32 v[2:3], v[4:5], v[2:3]
                                        ; implicit-def: $vgpr4_vgpr5
                                        ; implicit-def: $vgpr14_vgpr15
	s_delay_alu instid0(VALU_DEP_2)
	v_lshl_add_u64 v[0:1], v[0:1], 3, v[12:13]
                                        ; implicit-def: $vgpr12_vgpr13
	global_load_b64 v[8:9], v[0:1], off
	s_wait_loadcnt 0x0
	v_fmac_f64_e32 v[2:3], v[6:7], v[8:9]
                                        ; implicit-def: $vgpr8
	global_store_b64 v[0:1], v[2:3], off
                                        ; implicit-def: $vgpr0_vgpr1_vgpr2_vgpr3
                                        ; implicit-def: $vgpr0
.LBB13_46:
	s_wait_xcnt 0x0
	s_and_not1_saveexec_b32 s0, s0
	s_cbranch_execz .LBB13_51
; %bb.47:
	v_mul_f64_e32 v[2:3], v[4:5], v[2:3]
	v_cmp_ne_u32_e32 vcc_lo, 1, v8
	s_mov_b32 s0, -1
	s_cbranch_vccnz .LBB13_49
; %bb.48:
	v_lshl_add_u64 v[4:5], v[0:1], 3, v[14:15]
	s_mov_b32 s0, 0
	global_store_b64 v[4:5], v[2:3], off
.LBB13_49:
	s_and_not1_b32 vcc_lo, exec_lo, s0
	s_cbranch_vccnz .LBB13_51
; %bb.50:
	v_mul_u64_e32 v[0:1], s[2:3], v[0:1]
	s_delay_alu instid0(VALU_DEP_1)
	v_lshl_add_u64 v[0:1], v[0:1], 3, v[12:13]
	global_store_b64 v[0:1], v[2:3], off
.LBB13_51:
	s_endpgm
	.section	.rodata,"a",@progbits
	.p2align	6, 0x0
	.amdhsa_kernel _ZN9rocsparseL31bsrmm_large_blockdim_kernel_extILj4ELj16ELj2EiiddddEEvb20rocsparse_direction_T3_S2_llNS_24const_host_device_scalarIT7_EEPKT2_PKS2_PKT4_S2_PKT5_llS5_PT6_ll16rocsparse_order_21rocsparse_index_base_b
		.amdhsa_group_segment_fixed_size 1152
		.amdhsa_private_segment_fixed_size 0
		.amdhsa_kernarg_size 140
		.amdhsa_user_sgpr_count 2
		.amdhsa_user_sgpr_dispatch_ptr 0
		.amdhsa_user_sgpr_queue_ptr 0
		.amdhsa_user_sgpr_kernarg_segment_ptr 1
		.amdhsa_user_sgpr_dispatch_id 0
		.amdhsa_user_sgpr_kernarg_preload_length 0
		.amdhsa_user_sgpr_kernarg_preload_offset 0
		.amdhsa_user_sgpr_private_segment_size 0
		.amdhsa_wavefront_size32 1
		.amdhsa_uses_dynamic_stack 0
		.amdhsa_enable_private_segment 0
		.amdhsa_system_sgpr_workgroup_id_x 1
		.amdhsa_system_sgpr_workgroup_id_y 1
		.amdhsa_system_sgpr_workgroup_id_z 0
		.amdhsa_system_sgpr_workgroup_info 0
		.amdhsa_system_vgpr_workitem_id 1
		.amdhsa_next_free_vgpr 32
		.amdhsa_next_free_sgpr 28
		.amdhsa_named_barrier_count 0
		.amdhsa_reserve_vcc 1
		.amdhsa_float_round_mode_32 0
		.amdhsa_float_round_mode_16_64 0
		.amdhsa_float_denorm_mode_32 3
		.amdhsa_float_denorm_mode_16_64 3
		.amdhsa_fp16_overflow 0
		.amdhsa_memory_ordered 1
		.amdhsa_forward_progress 1
		.amdhsa_inst_pref_size 14
		.amdhsa_round_robin_scheduling 0
		.amdhsa_exception_fp_ieee_invalid_op 0
		.amdhsa_exception_fp_denorm_src 0
		.amdhsa_exception_fp_ieee_div_zero 0
		.amdhsa_exception_fp_ieee_overflow 0
		.amdhsa_exception_fp_ieee_underflow 0
		.amdhsa_exception_fp_ieee_inexact 0
		.amdhsa_exception_int_div_zero 0
	.end_amdhsa_kernel
	.section	.text._ZN9rocsparseL31bsrmm_large_blockdim_kernel_extILj4ELj16ELj2EiiddddEEvb20rocsparse_direction_T3_S2_llNS_24const_host_device_scalarIT7_EEPKT2_PKS2_PKT4_S2_PKT5_llS5_PT6_ll16rocsparse_order_21rocsparse_index_base_b,"axG",@progbits,_ZN9rocsparseL31bsrmm_large_blockdim_kernel_extILj4ELj16ELj2EiiddddEEvb20rocsparse_direction_T3_S2_llNS_24const_host_device_scalarIT7_EEPKT2_PKS2_PKT4_S2_PKT5_llS5_PT6_ll16rocsparse_order_21rocsparse_index_base_b,comdat
.Lfunc_end13:
	.size	_ZN9rocsparseL31bsrmm_large_blockdim_kernel_extILj4ELj16ELj2EiiddddEEvb20rocsparse_direction_T3_S2_llNS_24const_host_device_scalarIT7_EEPKT2_PKS2_PKT4_S2_PKT5_llS5_PT6_ll16rocsparse_order_21rocsparse_index_base_b, .Lfunc_end13-_ZN9rocsparseL31bsrmm_large_blockdim_kernel_extILj4ELj16ELj2EiiddddEEvb20rocsparse_direction_T3_S2_llNS_24const_host_device_scalarIT7_EEPKT2_PKS2_PKT4_S2_PKT5_llS5_PT6_ll16rocsparse_order_21rocsparse_index_base_b
                                        ; -- End function
	.set _ZN9rocsparseL31bsrmm_large_blockdim_kernel_extILj4ELj16ELj2EiiddddEEvb20rocsparse_direction_T3_S2_llNS_24const_host_device_scalarIT7_EEPKT2_PKS2_PKT4_S2_PKT5_llS5_PT6_ll16rocsparse_order_21rocsparse_index_base_b.num_vgpr, 32
	.set _ZN9rocsparseL31bsrmm_large_blockdim_kernel_extILj4ELj16ELj2EiiddddEEvb20rocsparse_direction_T3_S2_llNS_24const_host_device_scalarIT7_EEPKT2_PKS2_PKT4_S2_PKT5_llS5_PT6_ll16rocsparse_order_21rocsparse_index_base_b.num_agpr, 0
	.set _ZN9rocsparseL31bsrmm_large_blockdim_kernel_extILj4ELj16ELj2EiiddddEEvb20rocsparse_direction_T3_S2_llNS_24const_host_device_scalarIT7_EEPKT2_PKS2_PKT4_S2_PKT5_llS5_PT6_ll16rocsparse_order_21rocsparse_index_base_b.numbered_sgpr, 28
	.set _ZN9rocsparseL31bsrmm_large_blockdim_kernel_extILj4ELj16ELj2EiiddddEEvb20rocsparse_direction_T3_S2_llNS_24const_host_device_scalarIT7_EEPKT2_PKS2_PKT4_S2_PKT5_llS5_PT6_ll16rocsparse_order_21rocsparse_index_base_b.num_named_barrier, 0
	.set _ZN9rocsparseL31bsrmm_large_blockdim_kernel_extILj4ELj16ELj2EiiddddEEvb20rocsparse_direction_T3_S2_llNS_24const_host_device_scalarIT7_EEPKT2_PKS2_PKT4_S2_PKT5_llS5_PT6_ll16rocsparse_order_21rocsparse_index_base_b.private_seg_size, 0
	.set _ZN9rocsparseL31bsrmm_large_blockdim_kernel_extILj4ELj16ELj2EiiddddEEvb20rocsparse_direction_T3_S2_llNS_24const_host_device_scalarIT7_EEPKT2_PKS2_PKT4_S2_PKT5_llS5_PT6_ll16rocsparse_order_21rocsparse_index_base_b.uses_vcc, 1
	.set _ZN9rocsparseL31bsrmm_large_blockdim_kernel_extILj4ELj16ELj2EiiddddEEvb20rocsparse_direction_T3_S2_llNS_24const_host_device_scalarIT7_EEPKT2_PKS2_PKT4_S2_PKT5_llS5_PT6_ll16rocsparse_order_21rocsparse_index_base_b.uses_flat_scratch, 0
	.set _ZN9rocsparseL31bsrmm_large_blockdim_kernel_extILj4ELj16ELj2EiiddddEEvb20rocsparse_direction_T3_S2_llNS_24const_host_device_scalarIT7_EEPKT2_PKS2_PKT4_S2_PKT5_llS5_PT6_ll16rocsparse_order_21rocsparse_index_base_b.has_dyn_sized_stack, 0
	.set _ZN9rocsparseL31bsrmm_large_blockdim_kernel_extILj4ELj16ELj2EiiddddEEvb20rocsparse_direction_T3_S2_llNS_24const_host_device_scalarIT7_EEPKT2_PKS2_PKT4_S2_PKT5_llS5_PT6_ll16rocsparse_order_21rocsparse_index_base_b.has_recursion, 0
	.set _ZN9rocsparseL31bsrmm_large_blockdim_kernel_extILj4ELj16ELj2EiiddddEEvb20rocsparse_direction_T3_S2_llNS_24const_host_device_scalarIT7_EEPKT2_PKS2_PKT4_S2_PKT5_llS5_PT6_ll16rocsparse_order_21rocsparse_index_base_b.has_indirect_call, 0
	.section	.AMDGPU.csdata,"",@progbits
; Kernel info:
; codeLenInByte = 1668
; TotalNumSgprs: 30
; NumVgprs: 32
; ScratchSize: 0
; MemoryBound: 0
; FloatMode: 240
; IeeeMode: 1
; LDSByteSize: 1152 bytes/workgroup (compile time only)
; SGPRBlocks: 0
; VGPRBlocks: 1
; NumSGPRsForWavesPerEU: 30
; NumVGPRsForWavesPerEU: 32
; NamedBarCnt: 0
; Occupancy: 16
; WaveLimiterHint : 1
; COMPUTE_PGM_RSRC2:SCRATCH_EN: 0
; COMPUTE_PGM_RSRC2:USER_SGPR: 2
; COMPUTE_PGM_RSRC2:TRAP_HANDLER: 0
; COMPUTE_PGM_RSRC2:TGID_X_EN: 1
; COMPUTE_PGM_RSRC2:TGID_Y_EN: 1
; COMPUTE_PGM_RSRC2:TGID_Z_EN: 0
; COMPUTE_PGM_RSRC2:TIDIG_COMP_CNT: 1
	.section	.text._ZN9rocsparseL31bsrmm_large_blockdim_kernel_extILj16ELj16ELj2EiiddddEEvb20rocsparse_direction_T3_S2_llNS_24const_host_device_scalarIT7_EEPKT2_PKS2_PKT4_S2_PKT5_llS5_PT6_ll16rocsparse_order_21rocsparse_index_base_b,"axG",@progbits,_ZN9rocsparseL31bsrmm_large_blockdim_kernel_extILj16ELj16ELj2EiiddddEEvb20rocsparse_direction_T3_S2_llNS_24const_host_device_scalarIT7_EEPKT2_PKS2_PKT4_S2_PKT5_llS5_PT6_ll16rocsparse_order_21rocsparse_index_base_b,comdat
	.globl	_ZN9rocsparseL31bsrmm_large_blockdim_kernel_extILj16ELj16ELj2EiiddddEEvb20rocsparse_direction_T3_S2_llNS_24const_host_device_scalarIT7_EEPKT2_PKS2_PKT4_S2_PKT5_llS5_PT6_ll16rocsparse_order_21rocsparse_index_base_b ; -- Begin function _ZN9rocsparseL31bsrmm_large_blockdim_kernel_extILj16ELj16ELj2EiiddddEEvb20rocsparse_direction_T3_S2_llNS_24const_host_device_scalarIT7_EEPKT2_PKS2_PKT4_S2_PKT5_llS5_PT6_ll16rocsparse_order_21rocsparse_index_base_b
	.p2align	8
	.type	_ZN9rocsparseL31bsrmm_large_blockdim_kernel_extILj16ELj16ELj2EiiddddEEvb20rocsparse_direction_T3_S2_llNS_24const_host_device_scalarIT7_EEPKT2_PKS2_PKT4_S2_PKT5_llS5_PT6_ll16rocsparse_order_21rocsparse_index_base_b,@function
_ZN9rocsparseL31bsrmm_large_blockdim_kernel_extILj16ELj16ELj2EiiddddEEvb20rocsparse_direction_T3_S2_llNS_24const_host_device_scalarIT7_EEPKT2_PKS2_PKT4_S2_PKT5_llS5_PT6_ll16rocsparse_order_21rocsparse_index_base_b: ; @_ZN9rocsparseL31bsrmm_large_blockdim_kernel_extILj16ELj16ELj2EiiddddEEvb20rocsparse_direction_T3_S2_llNS_24const_host_device_scalarIT7_EEPKT2_PKS2_PKT4_S2_PKT5_llS5_PT6_ll16rocsparse_order_21rocsparse_index_base_b
; %bb.0:
	s_clause 0x2
	s_load_b96 s[20:22], s[0:1], 0x80
	s_load_b64 s[4:5], s[0:1], 0x20
	s_load_b64 s[2:3], s[0:1], 0x60
	s_wait_kmcnt 0x0
	s_bitcmp1_b32 s22, 0
	v_mov_b64_e32 v[4:5], s[4:5]
	s_cselect_b32 s6, -1, 0
	s_delay_alu instid0(SALU_CYCLE_1)
	s_and_b32 vcc_lo, exec_lo, s6
	s_xor_b32 s6, s6, -1
	s_cbranch_vccnz .LBB14_2
; %bb.1:
	v_mov_b32_e32 v1, 0
	flat_load_b64 v[4:5], v1, s[4:5]
.LBB14_2:
	v_mov_b64_e32 v[6:7], s[2:3]
	s_and_not1_b32 vcc_lo, exec_lo, s6
	s_cbranch_vccnz .LBB14_4
; %bb.3:
	s_wait_xcnt 0x0
	v_mov_b32_e32 v1, 0
	flat_load_b64 v[6:7], v1, s[2:3]
.LBB14_4:
	s_wait_loadcnt_dscnt 0x0
	v_cmp_neq_f64_e32 vcc_lo, 0, v[4:5]
	s_delay_alu instid0(VALU_DEP_2) | instskip(SKIP_1) | instid1(SALU_CYCLE_1)
	v_cmp_neq_f64_e64 s2, 1.0, v[6:7]
	s_or_b32 s2, vcc_lo, s2
	s_and_saveexec_b32 s3, s2
	s_cbranch_execz .LBB14_51
; %bb.5:
	s_clause 0x1
	s_load_b128 s[8:11], s[0:1], 0x0
	s_load_b64 s[2:3], s[0:1], 0x28
	s_bfe_u32 s4, ttmp6, 0x4000c
	s_and_b32 s5, ttmp6, 15
	s_add_co_i32 s4, s4, 1
	s_mov_b32 s25, 0
	s_mul_i32 s6, ttmp9, s4
	s_getreg_b32 s4, hwreg(HW_REG_IB_STS2, 6, 4)
	s_add_co_i32 s5, s5, s6
	s_cmp_eq_u32 s4, 0
	s_mov_b32 s22, 0
	s_cselect_b32 s6, ttmp9, s5
	s_wait_kmcnt 0x0
	s_cmp_lt_i32 s6, s10
	s_cselect_b32 s24, -1, 0
	s_cmp_ge_i32 s6, s10
	s_cbranch_scc1 .LBB14_7
; %bb.6:
	s_ashr_i32 s7, s6, 31
	s_delay_alu instid0(SALU_CYCLE_1) | instskip(NEXT) | instid1(SALU_CYCLE_1)
	s_lshl_b64 s[12:13], s[6:7], 2
	s_add_nc_u64 s[12:13], s[2:3], s[12:13]
	s_load_b32 s5, s[12:13], 0x0
	s_wait_kmcnt 0x0
	s_sub_co_i32 s22, s5, s21
.LBB14_7:
	s_and_not1_b32 vcc_lo, exec_lo, s24
	s_cbranch_vccnz .LBB14_9
; %bb.8:
	s_ashr_i32 s7, s6, 31
	s_delay_alu instid0(SALU_CYCLE_1) | instskip(NEXT) | instid1(SALU_CYCLE_1)
	s_lshl_b64 s[12:13], s[6:7], 2
	s_add_nc_u64 s[2:3], s[2:3], s[12:13]
	s_load_b32 s2, s[2:3], 0x4
	s_wait_kmcnt 0x0
	s_sub_co_i32 s25, s2, s21
.LBB14_9:
	s_bfe_u32 s2, ttmp6, 0x40010
	s_bfe_u32 s3, ttmp6, 0x40004
	s_add_co_i32 s2, s2, 1
	s_load_b32 s7, s[0:1], 0x40
	s_mul_i32 s2, ttmp7, s2
	v_bfe_u32 v2, v0, 10, 10
	s_add_co_i32 s3, s3, s2
	s_cmp_eq_u32 s4, 0
	v_and_b32_e32 v20, 0x3ff, v0
	s_cselect_b32 s2, ttmp7, s3
	s_cmp_ge_i32 s22, s25
	v_lshl_add_u32 v8, s2, 5, v2
	s_delay_alu instid0(VALU_DEP_1) | instskip(SKIP_1) | instid1(VALU_DEP_2)
	v_add_nc_u32_e32 v0, 16, v8
	v_cmp_gt_i32_e64 s2, s11, v8
	v_cmp_gt_i32_e64 s3, s11, v0
	s_wait_kmcnt 0x0
	v_cmp_gt_i32_e32 vcc_lo, s7, v20
	s_cbranch_scc1 .LBB14_27
; %bb.10:
	s_clause 0x1
	s_load_b128 s[12:15], s[0:1], 0x48
	s_load_b128 s[16:19], s[0:1], 0x30
	v_dual_ashrrev_i32 v9, 31, v8 :: v_dual_lshlrev_b32 v21, 7, v2
	v_dual_mov_b32 v10, 0 :: v_dual_ashrrev_i32 v1, 31, v0
	v_cmp_gt_i32_e64 s4, s7, v2
	v_mad_u32 v3, s7, v2, v20
	v_mad_u32 v11, s7, v20, v2
	v_lshl_add_u32 v16, v2, 3, 0x1000
	v_dual_lshlrev_b32 v17, 3, v20 :: v_dual_lshlrev_b32 v18, 7, v20
	s_and_b32 s10, vcc_lo, s4
	s_bitcmp1_b32 s8, 0
	v_add_nc_u32_e32 v24, 0x800, v21
	s_cselect_b32 s4, -1, 0
	s_cmp_eq_u32 s9, 0
	v_dual_mov_b32 v2, v10 :: v_dual_add_nc_u32 v23, 0x1000, v18
	s_cselect_b32 s5, -1, 0
	s_wait_kmcnt 0x0
	v_mul_u64_e32 v[12:13], s[14:15], v[8:9]
	v_mul_u64_e32 v[14:15], s[14:15], v[0:1]
	v_dual_cndmask_b32 v22, v3, v11, s5 :: v_dual_mov_b32 v11, v10
	v_dual_mov_b32 v3, v10 :: v_dual_add_nc_u32 v25, v17, v21
	v_add_nc_u32_e32 v26, v16, v18
	s_mul_i32 s5, s7, s7
	s_branch .LBB14_13
.LBB14_11:                              ;   in Loop: Header=BB14_13 Depth=1
	s_or_b32 exec_lo, exec_lo, s9
.LBB14_12:                              ;   in Loop: Header=BB14_13 Depth=1
	s_delay_alu instid0(SALU_CYCLE_1) | instskip(SKIP_1) | instid1(SALU_CYCLE_1)
	s_or_b32 exec_lo, exec_lo, s8
	s_add_co_i32 s22, s22, 1
	s_cmp_ge_i32 s22, s25
	s_barrier_signal -1
	s_barrier_wait -1
	s_cbranch_scc1 .LBB14_28
.LBB14_13:                              ; =>This Loop Header: Depth=1
                                        ;     Child Loop BB14_23 Depth 2
                                        ;     Child Loop BB14_26 Depth 2
	s_and_saveexec_b32 s8, vcc_lo
	s_cbranch_execz .LBB14_18
; %bb.14:                               ;   in Loop: Header=BB14_13 Depth=1
	s_ashr_i32 s23, s22, 31
	s_delay_alu instid0(SALU_CYCLE_1) | instskip(NEXT) | instid1(SALU_CYCLE_1)
	s_lshl_b64 s[26:27], s[22:23], 2
	s_add_nc_u64 s[26:27], s[16:17], s[26:27]
	s_load_b32 s9, s[26:27], 0x0
	s_wait_kmcnt 0x0
	s_sub_co_i32 s9, s9, s21
	s_delay_alu instid0(SALU_CYCLE_1) | instskip(NEXT) | instid1(VALU_DEP_1)
	v_mad_u32 v18, s9, s7, v20
	v_ashrrev_i32_e32 v19, 31, v18
	s_delay_alu instid0(VALU_DEP_1) | instskip(SKIP_1) | instid1(VALU_DEP_2)
	v_mul_u64_e32 v[16:17], s[14:15], v[18:19]
	v_lshl_add_u64 v[18:19], v[18:19], 3, s[12:13]
	v_lshl_add_u64 v[16:17], v[16:17], 3, s[12:13]
	s_and_saveexec_b32 s9, s2
	s_cbranch_execz .LBB14_16
; %bb.15:                               ;   in Loop: Header=BB14_13 Depth=1
	s_delay_alu instid0(VALU_DEP_1) | instskip(SKIP_1) | instid1(VALU_DEP_1)
	v_lshl_add_u64 v[28:29], v[8:9], 3, v[16:17]
	v_lshl_add_u64 v[30:31], v[12:13], 3, v[18:19]
	v_dual_cndmask_b32 v29, v29, v31, s4 :: v_dual_cndmask_b32 v28, v28, v30, s4
	global_load_b64 v[28:29], v[28:29], off
	s_wait_loadcnt 0x0
	ds_store_b64 v25, v[28:29]
.LBB14_16:                              ;   in Loop: Header=BB14_13 Depth=1
	s_or_b32 exec_lo, exec_lo, s9
	s_delay_alu instid0(SALU_CYCLE_1)
	s_and_b32 exec_lo, exec_lo, s3
	s_cbranch_execz .LBB14_18
; %bb.17:                               ;   in Loop: Header=BB14_13 Depth=1
	v_lshl_add_u64 v[18:19], v[14:15], 3, v[18:19]
	v_lshl_add_u64 v[16:17], v[0:1], 3, v[16:17]
	s_delay_alu instid0(VALU_DEP_1)
	v_dual_cndmask_b32 v17, v17, v19, s4 :: v_dual_cndmask_b32 v16, v16, v18, s4
	global_load_b64 v[16:17], v[16:17], off
	s_wait_loadcnt 0x0
	ds_store_b64 v25, v[16:17] offset:2048
.LBB14_18:                              ;   in Loop: Header=BB14_13 Depth=1
	s_or_b32 exec_lo, exec_lo, s8
	s_and_saveexec_b32 s8, s10
	s_cbranch_execz .LBB14_20
; %bb.19:                               ;   in Loop: Header=BB14_13 Depth=1
	v_mad_u32 v16, s5, s22, v22
	global_load_b64 v[16:17], v16, s[18:19] scale_offset
	s_wait_loadcnt 0x0
	ds_store_b64 v26, v[16:17]
.LBB14_20:                              ;   in Loop: Header=BB14_13 Depth=1
	s_or_b32 exec_lo, exec_lo, s8
	s_wait_dscnt 0x0
	s_barrier_signal -1
	s_barrier_wait -1
	s_and_saveexec_b32 s8, vcc_lo
	s_cbranch_execz .LBB14_12
; %bb.21:                               ;   in Loop: Header=BB14_13 Depth=1
	s_and_saveexec_b32 s9, s2
	s_cbranch_execz .LBB14_24
; %bb.22:                               ;   in Loop: Header=BB14_13 Depth=1
	v_dual_mov_b32 v16, v23 :: v_dual_mov_b32 v17, v21
	s_mov_b32 s23, s7
.LBB14_23:                              ;   Parent Loop BB14_13 Depth=1
                                        ; =>  This Inner Loop Header: Depth=2
	ds_load_b64 v[18:19], v16
	ds_load_b64 v[28:29], v17
	v_dual_add_nc_u32 v17, 8, v17 :: v_dual_add_nc_u32 v16, 8, v16
	s_add_co_i32 s23, s23, -1
	s_delay_alu instid0(SALU_CYCLE_1)
	s_cmp_lg_u32 s23, 0
	s_wait_dscnt 0x0
	v_fmac_f64_e32 v[10:11], v[18:19], v[28:29]
	s_cbranch_scc1 .LBB14_23
.LBB14_24:                              ;   in Loop: Header=BB14_13 Depth=1
	s_or_b32 exec_lo, exec_lo, s9
	s_and_saveexec_b32 s9, s3
	s_cbranch_execz .LBB14_11
; %bb.25:                               ;   in Loop: Header=BB14_13 Depth=1
	v_dual_mov_b32 v16, v23 :: v_dual_mov_b32 v17, v24
	s_mov_b32 s23, s7
.LBB14_26:                              ;   Parent Loop BB14_13 Depth=1
                                        ; =>  This Inner Loop Header: Depth=2
	ds_load_b64 v[18:19], v16
	ds_load_b64 v[28:29], v17
	v_dual_add_nc_u32 v17, 8, v17 :: v_dual_add_nc_u32 v16, 8, v16
	s_add_co_i32 s23, s23, -1
	s_delay_alu instid0(SALU_CYCLE_1)
	s_cmp_lg_u32 s23, 0
	s_wait_dscnt 0x0
	v_fmac_f64_e32 v[2:3], v[18:19], v[28:29]
	s_cbranch_scc1 .LBB14_26
	s_branch .LBB14_11
.LBB14_27:
	v_mov_b32_e32 v10, 0
	s_delay_alu instid0(VALU_DEP_1)
	v_dual_mov_b32 v11, v10 :: v_dual_mov_b32 v2, v10
	v_mov_b32_e32 v3, v10
.LBB14_28:
	s_load_b64 s[4:5], s[0:1], 0x68
	s_and_b32 s2, s24, vcc_lo
	s_delay_alu instid0(SALU_CYCLE_1)
	s_and_b32 exec_lo, exec_lo, s2
	s_cbranch_execz .LBB14_51
; %bb.29:
	s_load_b64 s[2:3], s[0:1], 0x70
	v_mad_u32 v12, s7, s6, v20
	s_wait_xcnt 0x0
	v_cmp_neq_f64_e64 s0, 0, v[6:7]
	s_cmp_lg_u32 s20, 1
	s_cselect_b32 s1, -1, 0
	v_ashrrev_i32_e32 v13, 31, v12
	s_wait_kmcnt 0x0
	s_delay_alu instid0(VALU_DEP_1) | instskip(SKIP_1) | instid1(VALU_DEP_2)
	v_mul_u64_e32 v[14:15], s[2:3], v[12:13]
	v_lshl_add_u64 v[12:13], v[12:13], 3, s[4:5]
	v_lshl_add_u64 v[14:15], v[14:15], 3, s[4:5]
	s_mov_b32 s4, exec_lo
	v_cmpx_gt_i32_e64 s11, v8
	s_cbranch_execz .LBB14_40
; %bb.30:
	v_ashrrev_i32_e32 v9, 31, v8
	s_and_saveexec_b32 s5, s0
	s_delay_alu instid0(SALU_CYCLE_1)
	s_xor_b32 s5, exec_lo, s5
	s_cbranch_execz .LBB14_35
; %bb.31:
	s_and_b32 vcc_lo, exec_lo, s1
	s_mov_b32 s6, -1
	s_cbranch_vccz .LBB14_33
; %bb.32:
	v_lshl_add_u64 v[16:17], v[8:9], 3, v[14:15]
	v_mul_f64_e32 v[20:21], v[4:5], v[10:11]
	s_mov_b32 s6, 0
	global_load_b64 v[18:19], v[16:17], off
	s_wait_loadcnt 0x0
	v_fmac_f64_e32 v[20:21], v[6:7], v[18:19]
	global_store_b64 v[16:17], v[20:21], off
.LBB14_33:
	s_and_not1_b32 vcc_lo, exec_lo, s6
	s_cbranch_vccnz .LBB14_35
; %bb.34:
	v_mul_u64_e32 v[8:9], s[2:3], v[8:9]
	v_mul_f64_e32 v[18:19], v[4:5], v[10:11]
	s_delay_alu instid0(VALU_DEP_2)
	v_lshl_add_u64 v[8:9], v[8:9], 3, v[12:13]
	global_load_b64 v[16:17], v[8:9], off
	s_wait_loadcnt 0x0
	v_fmac_f64_e32 v[18:19], v[6:7], v[16:17]
	global_store_b64 v[8:9], v[18:19], off
                                        ; implicit-def: $vgpr8
.LBB14_35:
	s_wait_xcnt 0x0
	s_and_not1_saveexec_b32 s5, s5
	s_cbranch_execz .LBB14_40
; %bb.36:
	v_mul_f64_e32 v[10:11], v[4:5], v[10:11]
	s_and_b32 vcc_lo, exec_lo, s1
	s_mov_b32 s5, -1
	s_cbranch_vccz .LBB14_38
; %bb.37:
	v_lshl_add_u64 v[16:17], v[8:9], 3, v[14:15]
	s_mov_b32 s5, 0
	global_store_b64 v[16:17], v[10:11], off
.LBB14_38:
	s_and_not1_b32 vcc_lo, exec_lo, s5
	s_cbranch_vccnz .LBB14_40
; %bb.39:
	v_mul_u64_e32 v[8:9], s[2:3], v[8:9]
	s_delay_alu instid0(VALU_DEP_1)
	v_lshl_add_u64 v[8:9], v[8:9], 3, v[12:13]
	global_store_b64 v[8:9], v[10:11], off
.LBB14_40:
	s_wait_xcnt 0x0
	s_or_b32 exec_lo, exec_lo, s4
	v_cmp_gt_i32_e32 vcc_lo, s11, v0
	s_and_b32 exec_lo, exec_lo, vcc_lo
	s_cbranch_execz .LBB14_51
; %bb.41:
	v_ashrrev_i32_e32 v1, 31, v0
	v_cndmask_b32_e64 v8, 0, 1, s1
	s_and_saveexec_b32 s1, s0
	s_delay_alu instid0(SALU_CYCLE_1)
	s_xor_b32 s0, exec_lo, s1
	s_cbranch_execz .LBB14_46
; %bb.42:
	s_delay_alu instid0(VALU_DEP_1)
	v_cmp_ne_u32_e32 vcc_lo, 1, v8
	s_mov_b32 s1, -1
	s_cbranch_vccnz .LBB14_44
; %bb.43:
	v_lshl_add_u64 v[8:9], v[0:1], 3, v[14:15]
	v_mul_f64_e32 v[14:15], v[4:5], v[2:3]
	s_mov_b32 s1, 0
	global_load_b64 v[10:11], v[8:9], off
	s_wait_loadcnt 0x0
	v_fmac_f64_e32 v[14:15], v[6:7], v[10:11]
	global_store_b64 v[8:9], v[14:15], off
.LBB14_44:
	s_and_not1_b32 vcc_lo, exec_lo, s1
                                        ; implicit-def: $vgpr8
                                        ; implicit-def: $vgpr14_vgpr15
	s_cbranch_vccnz .LBB14_46
; %bb.45:
	v_mul_u64_e32 v[0:1], s[2:3], v[0:1]
	v_mul_f64_e32 v[2:3], v[4:5], v[2:3]
                                        ; implicit-def: $vgpr4_vgpr5
                                        ; implicit-def: $vgpr14_vgpr15
	s_delay_alu instid0(VALU_DEP_2)
	v_lshl_add_u64 v[0:1], v[0:1], 3, v[12:13]
                                        ; implicit-def: $vgpr12_vgpr13
	global_load_b64 v[8:9], v[0:1], off
	s_wait_loadcnt 0x0
	v_fmac_f64_e32 v[2:3], v[6:7], v[8:9]
                                        ; implicit-def: $vgpr8
	global_store_b64 v[0:1], v[2:3], off
                                        ; implicit-def: $vgpr0_vgpr1_vgpr2_vgpr3
                                        ; implicit-def: $vgpr0
.LBB14_46:
	s_wait_xcnt 0x0
	s_and_not1_saveexec_b32 s0, s0
	s_cbranch_execz .LBB14_51
; %bb.47:
	v_mul_f64_e32 v[2:3], v[4:5], v[2:3]
	v_cmp_ne_u32_e32 vcc_lo, 1, v8
	s_mov_b32 s0, -1
	s_cbranch_vccnz .LBB14_49
; %bb.48:
	v_lshl_add_u64 v[4:5], v[0:1], 3, v[14:15]
	s_mov_b32 s0, 0
	global_store_b64 v[4:5], v[2:3], off
.LBB14_49:
	s_and_not1_b32 vcc_lo, exec_lo, s0
	s_cbranch_vccnz .LBB14_51
; %bb.50:
	v_mul_u64_e32 v[0:1], s[2:3], v[0:1]
	s_delay_alu instid0(VALU_DEP_1)
	v_lshl_add_u64 v[0:1], v[0:1], 3, v[12:13]
	global_store_b64 v[0:1], v[2:3], off
.LBB14_51:
	s_endpgm
	.section	.rodata,"a",@progbits
	.p2align	6, 0x0
	.amdhsa_kernel _ZN9rocsparseL31bsrmm_large_blockdim_kernel_extILj16ELj16ELj2EiiddddEEvb20rocsparse_direction_T3_S2_llNS_24const_host_device_scalarIT7_EEPKT2_PKS2_PKT4_S2_PKT5_llS5_PT6_ll16rocsparse_order_21rocsparse_index_base_b
		.amdhsa_group_segment_fixed_size 6144
		.amdhsa_private_segment_fixed_size 0
		.amdhsa_kernarg_size 140
		.amdhsa_user_sgpr_count 2
		.amdhsa_user_sgpr_dispatch_ptr 0
		.amdhsa_user_sgpr_queue_ptr 0
		.amdhsa_user_sgpr_kernarg_segment_ptr 1
		.amdhsa_user_sgpr_dispatch_id 0
		.amdhsa_user_sgpr_kernarg_preload_length 0
		.amdhsa_user_sgpr_kernarg_preload_offset 0
		.amdhsa_user_sgpr_private_segment_size 0
		.amdhsa_wavefront_size32 1
		.amdhsa_uses_dynamic_stack 0
		.amdhsa_enable_private_segment 0
		.amdhsa_system_sgpr_workgroup_id_x 1
		.amdhsa_system_sgpr_workgroup_id_y 1
		.amdhsa_system_sgpr_workgroup_id_z 0
		.amdhsa_system_sgpr_workgroup_info 0
		.amdhsa_system_vgpr_workitem_id 1
		.amdhsa_next_free_vgpr 32
		.amdhsa_next_free_sgpr 28
		.amdhsa_named_barrier_count 0
		.amdhsa_reserve_vcc 1
		.amdhsa_float_round_mode_32 0
		.amdhsa_float_round_mode_16_64 0
		.amdhsa_float_denorm_mode_32 3
		.amdhsa_float_denorm_mode_16_64 3
		.amdhsa_fp16_overflow 0
		.amdhsa_memory_ordered 1
		.amdhsa_forward_progress 1
		.amdhsa_inst_pref_size 14
		.amdhsa_round_robin_scheduling 0
		.amdhsa_exception_fp_ieee_invalid_op 0
		.amdhsa_exception_fp_denorm_src 0
		.amdhsa_exception_fp_ieee_div_zero 0
		.amdhsa_exception_fp_ieee_overflow 0
		.amdhsa_exception_fp_ieee_underflow 0
		.amdhsa_exception_fp_ieee_inexact 0
		.amdhsa_exception_int_div_zero 0
	.end_amdhsa_kernel
	.section	.text._ZN9rocsparseL31bsrmm_large_blockdim_kernel_extILj16ELj16ELj2EiiddddEEvb20rocsparse_direction_T3_S2_llNS_24const_host_device_scalarIT7_EEPKT2_PKS2_PKT4_S2_PKT5_llS5_PT6_ll16rocsparse_order_21rocsparse_index_base_b,"axG",@progbits,_ZN9rocsparseL31bsrmm_large_blockdim_kernel_extILj16ELj16ELj2EiiddddEEvb20rocsparse_direction_T3_S2_llNS_24const_host_device_scalarIT7_EEPKT2_PKS2_PKT4_S2_PKT5_llS5_PT6_ll16rocsparse_order_21rocsparse_index_base_b,comdat
.Lfunc_end14:
	.size	_ZN9rocsparseL31bsrmm_large_blockdim_kernel_extILj16ELj16ELj2EiiddddEEvb20rocsparse_direction_T3_S2_llNS_24const_host_device_scalarIT7_EEPKT2_PKS2_PKT4_S2_PKT5_llS5_PT6_ll16rocsparse_order_21rocsparse_index_base_b, .Lfunc_end14-_ZN9rocsparseL31bsrmm_large_blockdim_kernel_extILj16ELj16ELj2EiiddddEEvb20rocsparse_direction_T3_S2_llNS_24const_host_device_scalarIT7_EEPKT2_PKS2_PKT4_S2_PKT5_llS5_PT6_ll16rocsparse_order_21rocsparse_index_base_b
                                        ; -- End function
	.set _ZN9rocsparseL31bsrmm_large_blockdim_kernel_extILj16ELj16ELj2EiiddddEEvb20rocsparse_direction_T3_S2_llNS_24const_host_device_scalarIT7_EEPKT2_PKS2_PKT4_S2_PKT5_llS5_PT6_ll16rocsparse_order_21rocsparse_index_base_b.num_vgpr, 32
	.set _ZN9rocsparseL31bsrmm_large_blockdim_kernel_extILj16ELj16ELj2EiiddddEEvb20rocsparse_direction_T3_S2_llNS_24const_host_device_scalarIT7_EEPKT2_PKS2_PKT4_S2_PKT5_llS5_PT6_ll16rocsparse_order_21rocsparse_index_base_b.num_agpr, 0
	.set _ZN9rocsparseL31bsrmm_large_blockdim_kernel_extILj16ELj16ELj2EiiddddEEvb20rocsparse_direction_T3_S2_llNS_24const_host_device_scalarIT7_EEPKT2_PKS2_PKT4_S2_PKT5_llS5_PT6_ll16rocsparse_order_21rocsparse_index_base_b.numbered_sgpr, 28
	.set _ZN9rocsparseL31bsrmm_large_blockdim_kernel_extILj16ELj16ELj2EiiddddEEvb20rocsparse_direction_T3_S2_llNS_24const_host_device_scalarIT7_EEPKT2_PKS2_PKT4_S2_PKT5_llS5_PT6_ll16rocsparse_order_21rocsparse_index_base_b.num_named_barrier, 0
	.set _ZN9rocsparseL31bsrmm_large_blockdim_kernel_extILj16ELj16ELj2EiiddddEEvb20rocsparse_direction_T3_S2_llNS_24const_host_device_scalarIT7_EEPKT2_PKS2_PKT4_S2_PKT5_llS5_PT6_ll16rocsparse_order_21rocsparse_index_base_b.private_seg_size, 0
	.set _ZN9rocsparseL31bsrmm_large_blockdim_kernel_extILj16ELj16ELj2EiiddddEEvb20rocsparse_direction_T3_S2_llNS_24const_host_device_scalarIT7_EEPKT2_PKS2_PKT4_S2_PKT5_llS5_PT6_ll16rocsparse_order_21rocsparse_index_base_b.uses_vcc, 1
	.set _ZN9rocsparseL31bsrmm_large_blockdim_kernel_extILj16ELj16ELj2EiiddddEEvb20rocsparse_direction_T3_S2_llNS_24const_host_device_scalarIT7_EEPKT2_PKS2_PKT4_S2_PKT5_llS5_PT6_ll16rocsparse_order_21rocsparse_index_base_b.uses_flat_scratch, 0
	.set _ZN9rocsparseL31bsrmm_large_blockdim_kernel_extILj16ELj16ELj2EiiddddEEvb20rocsparse_direction_T3_S2_llNS_24const_host_device_scalarIT7_EEPKT2_PKS2_PKT4_S2_PKT5_llS5_PT6_ll16rocsparse_order_21rocsparse_index_base_b.has_dyn_sized_stack, 0
	.set _ZN9rocsparseL31bsrmm_large_blockdim_kernel_extILj16ELj16ELj2EiiddddEEvb20rocsparse_direction_T3_S2_llNS_24const_host_device_scalarIT7_EEPKT2_PKS2_PKT4_S2_PKT5_llS5_PT6_ll16rocsparse_order_21rocsparse_index_base_b.has_recursion, 0
	.set _ZN9rocsparseL31bsrmm_large_blockdim_kernel_extILj16ELj16ELj2EiiddddEEvb20rocsparse_direction_T3_S2_llNS_24const_host_device_scalarIT7_EEPKT2_PKS2_PKT4_S2_PKT5_llS5_PT6_ll16rocsparse_order_21rocsparse_index_base_b.has_indirect_call, 0
	.section	.AMDGPU.csdata,"",@progbits
; Kernel info:
; codeLenInByte = 1668
; TotalNumSgprs: 30
; NumVgprs: 32
; ScratchSize: 0
; MemoryBound: 0
; FloatMode: 240
; IeeeMode: 1
; LDSByteSize: 6144 bytes/workgroup (compile time only)
; SGPRBlocks: 0
; VGPRBlocks: 1
; NumSGPRsForWavesPerEU: 30
; NumVGPRsForWavesPerEU: 32
; NamedBarCnt: 0
; Occupancy: 16
; WaveLimiterHint : 1
; COMPUTE_PGM_RSRC2:SCRATCH_EN: 0
; COMPUTE_PGM_RSRC2:USER_SGPR: 2
; COMPUTE_PGM_RSRC2:TRAP_HANDLER: 0
; COMPUTE_PGM_RSRC2:TGID_X_EN: 1
; COMPUTE_PGM_RSRC2:TGID_Y_EN: 1
; COMPUTE_PGM_RSRC2:TGID_Z_EN: 0
; COMPUTE_PGM_RSRC2:TIDIG_COMP_CNT: 1
	.section	.text._ZN9rocsparseL31bsrmm_large_blockdim_kernel_extILj32ELj32ELj2EiiddddEEvb20rocsparse_direction_T3_S2_llNS_24const_host_device_scalarIT7_EEPKT2_PKS2_PKT4_S2_PKT5_llS5_PT6_ll16rocsparse_order_21rocsparse_index_base_b,"axG",@progbits,_ZN9rocsparseL31bsrmm_large_blockdim_kernel_extILj32ELj32ELj2EiiddddEEvb20rocsparse_direction_T3_S2_llNS_24const_host_device_scalarIT7_EEPKT2_PKS2_PKT4_S2_PKT5_llS5_PT6_ll16rocsparse_order_21rocsparse_index_base_b,comdat
	.globl	_ZN9rocsparseL31bsrmm_large_blockdim_kernel_extILj32ELj32ELj2EiiddddEEvb20rocsparse_direction_T3_S2_llNS_24const_host_device_scalarIT7_EEPKT2_PKS2_PKT4_S2_PKT5_llS5_PT6_ll16rocsparse_order_21rocsparse_index_base_b ; -- Begin function _ZN9rocsparseL31bsrmm_large_blockdim_kernel_extILj32ELj32ELj2EiiddddEEvb20rocsparse_direction_T3_S2_llNS_24const_host_device_scalarIT7_EEPKT2_PKS2_PKT4_S2_PKT5_llS5_PT6_ll16rocsparse_order_21rocsparse_index_base_b
	.p2align	8
	.type	_ZN9rocsparseL31bsrmm_large_blockdim_kernel_extILj32ELj32ELj2EiiddddEEvb20rocsparse_direction_T3_S2_llNS_24const_host_device_scalarIT7_EEPKT2_PKS2_PKT4_S2_PKT5_llS5_PT6_ll16rocsparse_order_21rocsparse_index_base_b,@function
_ZN9rocsparseL31bsrmm_large_blockdim_kernel_extILj32ELj32ELj2EiiddddEEvb20rocsparse_direction_T3_S2_llNS_24const_host_device_scalarIT7_EEPKT2_PKS2_PKT4_S2_PKT5_llS5_PT6_ll16rocsparse_order_21rocsparse_index_base_b: ; @_ZN9rocsparseL31bsrmm_large_blockdim_kernel_extILj32ELj32ELj2EiiddddEEvb20rocsparse_direction_T3_S2_llNS_24const_host_device_scalarIT7_EEPKT2_PKS2_PKT4_S2_PKT5_llS5_PT6_ll16rocsparse_order_21rocsparse_index_base_b
; %bb.0:
	s_clause 0x2
	s_load_b96 s[20:22], s[0:1], 0x80
	s_load_b64 s[4:5], s[0:1], 0x20
	s_load_b64 s[2:3], s[0:1], 0x60
	s_wait_kmcnt 0x0
	s_bitcmp1_b32 s22, 0
	v_mov_b64_e32 v[4:5], s[4:5]
	s_cselect_b32 s6, -1, 0
	s_delay_alu instid0(SALU_CYCLE_1)
	s_and_b32 vcc_lo, exec_lo, s6
	s_xor_b32 s6, s6, -1
	s_cbranch_vccnz .LBB15_2
; %bb.1:
	v_mov_b32_e32 v1, 0
	flat_load_b64 v[4:5], v1, s[4:5]
.LBB15_2:
	v_mov_b64_e32 v[6:7], s[2:3]
	s_and_not1_b32 vcc_lo, exec_lo, s6
	s_cbranch_vccnz .LBB15_4
; %bb.3:
	s_wait_xcnt 0x0
	v_mov_b32_e32 v1, 0
	flat_load_b64 v[6:7], v1, s[2:3]
.LBB15_4:
	s_wait_loadcnt_dscnt 0x0
	v_cmp_neq_f64_e32 vcc_lo, 0, v[4:5]
	s_delay_alu instid0(VALU_DEP_2) | instskip(SKIP_1) | instid1(SALU_CYCLE_1)
	v_cmp_neq_f64_e64 s2, 1.0, v[6:7]
	s_or_b32 s2, vcc_lo, s2
	s_and_saveexec_b32 s3, s2
	s_cbranch_execz .LBB15_51
; %bb.5:
	s_clause 0x1
	s_load_b128 s[8:11], s[0:1], 0x0
	s_load_b64 s[2:3], s[0:1], 0x28
	s_bfe_u32 s4, ttmp6, 0x4000c
	s_and_b32 s5, ttmp6, 15
	s_add_co_i32 s4, s4, 1
	s_mov_b32 s25, 0
	s_mul_i32 s6, ttmp9, s4
	s_getreg_b32 s4, hwreg(HW_REG_IB_STS2, 6, 4)
	s_add_co_i32 s5, s5, s6
	s_cmp_eq_u32 s4, 0
	s_mov_b32 s22, 0
	s_cselect_b32 s6, ttmp9, s5
	s_wait_kmcnt 0x0
	s_cmp_lt_i32 s6, s10
	s_cselect_b32 s24, -1, 0
	s_cmp_ge_i32 s6, s10
	s_cbranch_scc1 .LBB15_7
; %bb.6:
	s_ashr_i32 s7, s6, 31
	s_delay_alu instid0(SALU_CYCLE_1) | instskip(NEXT) | instid1(SALU_CYCLE_1)
	s_lshl_b64 s[12:13], s[6:7], 2
	s_add_nc_u64 s[12:13], s[2:3], s[12:13]
	s_load_b32 s5, s[12:13], 0x0
	s_wait_kmcnt 0x0
	s_sub_co_i32 s22, s5, s21
.LBB15_7:
	s_and_not1_b32 vcc_lo, exec_lo, s24
	s_cbranch_vccnz .LBB15_9
; %bb.8:
	s_ashr_i32 s7, s6, 31
	s_delay_alu instid0(SALU_CYCLE_1) | instskip(NEXT) | instid1(SALU_CYCLE_1)
	s_lshl_b64 s[12:13], s[6:7], 2
	s_add_nc_u64 s[2:3], s[2:3], s[12:13]
	s_load_b32 s2, s[2:3], 0x4
	s_wait_kmcnt 0x0
	s_sub_co_i32 s25, s2, s21
.LBB15_9:
	s_bfe_u32 s2, ttmp6, 0x40010
	s_bfe_u32 s3, ttmp6, 0x40004
	s_add_co_i32 s2, s2, 1
	s_load_b32 s7, s[0:1], 0x40
	s_mul_i32 s2, ttmp7, s2
	v_bfe_u32 v2, v0, 10, 10
	s_add_co_i32 s3, s3, s2
	s_cmp_eq_u32 s4, 0
	v_and_b32_e32 v20, 0x3ff, v0
	s_cselect_b32 s2, ttmp7, s3
	s_cmp_ge_i32 s22, s25
	v_lshl_add_u32 v8, s2, 6, v2
	s_delay_alu instid0(VALU_DEP_1) | instskip(SKIP_1) | instid1(VALU_DEP_2)
	v_add_nc_u32_e32 v0, 32, v8
	v_cmp_gt_i32_e64 s2, s11, v8
	v_cmp_gt_i32_e64 s3, s11, v0
	s_wait_kmcnt 0x0
	v_cmp_gt_i32_e32 vcc_lo, s7, v20
	s_cbranch_scc1 .LBB15_27
; %bb.10:
	s_clause 0x1
	s_load_b128 s[12:15], s[0:1], 0x48
	s_load_b128 s[16:19], s[0:1], 0x30
	v_dual_ashrrev_i32 v9, 31, v8 :: v_dual_lshlrev_b32 v21, 8, v2
	v_dual_mov_b32 v10, 0 :: v_dual_ashrrev_i32 v1, 31, v0
	v_cmp_gt_i32_e64 s4, s7, v2
	v_mad_u32 v3, s7, v2, v20
	v_mad_u32 v11, s7, v20, v2
	v_lshl_or_b32 v16, v2, 3, 0x4000
	v_dual_lshlrev_b32 v17, 3, v20 :: v_dual_lshlrev_b32 v18, 8, v20
	s_and_b32 s10, vcc_lo, s4
	s_bitcmp1_b32 s8, 0
	v_add_nc_u32_e32 v24, 0x2000, v21
	s_cselect_b32 s4, -1, 0
	s_cmp_eq_u32 s9, 0
	v_dual_mov_b32 v2, v10 :: v_dual_add_nc_u32 v23, 0x4000, v18
	s_cselect_b32 s5, -1, 0
	s_wait_kmcnt 0x0
	v_mul_u64_e32 v[12:13], s[14:15], v[8:9]
	v_mul_u64_e32 v[14:15], s[14:15], v[0:1]
	v_dual_cndmask_b32 v22, v3, v11, s5 :: v_dual_mov_b32 v11, v10
	v_dual_mov_b32 v3, v10 :: v_dual_add_nc_u32 v25, v17, v21
	v_add_nc_u32_e32 v26, v16, v18
	s_mul_i32 s5, s7, s7
	s_branch .LBB15_13
.LBB15_11:                              ;   in Loop: Header=BB15_13 Depth=1
	s_or_b32 exec_lo, exec_lo, s9
.LBB15_12:                              ;   in Loop: Header=BB15_13 Depth=1
	s_delay_alu instid0(SALU_CYCLE_1) | instskip(SKIP_1) | instid1(SALU_CYCLE_1)
	s_or_b32 exec_lo, exec_lo, s8
	s_add_co_i32 s22, s22, 1
	s_cmp_ge_i32 s22, s25
	s_barrier_signal -1
	s_barrier_wait -1
	s_cbranch_scc1 .LBB15_28
.LBB15_13:                              ; =>This Loop Header: Depth=1
                                        ;     Child Loop BB15_23 Depth 2
                                        ;     Child Loop BB15_26 Depth 2
	s_and_saveexec_b32 s8, vcc_lo
	s_cbranch_execz .LBB15_18
; %bb.14:                               ;   in Loop: Header=BB15_13 Depth=1
	s_ashr_i32 s23, s22, 31
	s_delay_alu instid0(SALU_CYCLE_1) | instskip(NEXT) | instid1(SALU_CYCLE_1)
	s_lshl_b64 s[26:27], s[22:23], 2
	s_add_nc_u64 s[26:27], s[16:17], s[26:27]
	s_load_b32 s9, s[26:27], 0x0
	s_wait_kmcnt 0x0
	s_sub_co_i32 s9, s9, s21
	s_delay_alu instid0(SALU_CYCLE_1) | instskip(NEXT) | instid1(VALU_DEP_1)
	v_mad_u32 v18, s9, s7, v20
	v_ashrrev_i32_e32 v19, 31, v18
	s_delay_alu instid0(VALU_DEP_1) | instskip(SKIP_1) | instid1(VALU_DEP_2)
	v_mul_u64_e32 v[16:17], s[14:15], v[18:19]
	v_lshl_add_u64 v[18:19], v[18:19], 3, s[12:13]
	v_lshl_add_u64 v[16:17], v[16:17], 3, s[12:13]
	s_and_saveexec_b32 s9, s2
	s_cbranch_execz .LBB15_16
; %bb.15:                               ;   in Loop: Header=BB15_13 Depth=1
	s_delay_alu instid0(VALU_DEP_1) | instskip(SKIP_1) | instid1(VALU_DEP_1)
	v_lshl_add_u64 v[28:29], v[8:9], 3, v[16:17]
	v_lshl_add_u64 v[30:31], v[12:13], 3, v[18:19]
	v_dual_cndmask_b32 v29, v29, v31, s4 :: v_dual_cndmask_b32 v28, v28, v30, s4
	global_load_b64 v[28:29], v[28:29], off
	s_wait_loadcnt 0x0
	ds_store_b64 v25, v[28:29]
.LBB15_16:                              ;   in Loop: Header=BB15_13 Depth=1
	s_or_b32 exec_lo, exec_lo, s9
	s_delay_alu instid0(SALU_CYCLE_1)
	s_and_b32 exec_lo, exec_lo, s3
	s_cbranch_execz .LBB15_18
; %bb.17:                               ;   in Loop: Header=BB15_13 Depth=1
	v_lshl_add_u64 v[18:19], v[14:15], 3, v[18:19]
	v_lshl_add_u64 v[16:17], v[0:1], 3, v[16:17]
	s_delay_alu instid0(VALU_DEP_1)
	v_dual_cndmask_b32 v17, v17, v19, s4 :: v_dual_cndmask_b32 v16, v16, v18, s4
	global_load_b64 v[16:17], v[16:17], off
	s_wait_loadcnt 0x0
	ds_store_b64 v25, v[16:17] offset:8192
.LBB15_18:                              ;   in Loop: Header=BB15_13 Depth=1
	s_or_b32 exec_lo, exec_lo, s8
	s_and_saveexec_b32 s8, s10
	s_cbranch_execz .LBB15_20
; %bb.19:                               ;   in Loop: Header=BB15_13 Depth=1
	v_mad_u32 v16, s5, s22, v22
	global_load_b64 v[16:17], v16, s[18:19] scale_offset
	s_wait_loadcnt 0x0
	ds_store_b64 v26, v[16:17]
.LBB15_20:                              ;   in Loop: Header=BB15_13 Depth=1
	s_or_b32 exec_lo, exec_lo, s8
	s_wait_dscnt 0x0
	s_barrier_signal -1
	s_barrier_wait -1
	s_and_saveexec_b32 s8, vcc_lo
	s_cbranch_execz .LBB15_12
; %bb.21:                               ;   in Loop: Header=BB15_13 Depth=1
	s_and_saveexec_b32 s9, s2
	s_cbranch_execz .LBB15_24
; %bb.22:                               ;   in Loop: Header=BB15_13 Depth=1
	v_dual_mov_b32 v16, v23 :: v_dual_mov_b32 v17, v21
	s_mov_b32 s23, s7
.LBB15_23:                              ;   Parent Loop BB15_13 Depth=1
                                        ; =>  This Inner Loop Header: Depth=2
	ds_load_b64 v[18:19], v16
	ds_load_b64 v[28:29], v17
	v_dual_add_nc_u32 v17, 8, v17 :: v_dual_add_nc_u32 v16, 8, v16
	s_add_co_i32 s23, s23, -1
	s_delay_alu instid0(SALU_CYCLE_1)
	s_cmp_lg_u32 s23, 0
	s_wait_dscnt 0x0
	v_fmac_f64_e32 v[10:11], v[18:19], v[28:29]
	s_cbranch_scc1 .LBB15_23
.LBB15_24:                              ;   in Loop: Header=BB15_13 Depth=1
	s_or_b32 exec_lo, exec_lo, s9
	s_and_saveexec_b32 s9, s3
	s_cbranch_execz .LBB15_11
; %bb.25:                               ;   in Loop: Header=BB15_13 Depth=1
	v_dual_mov_b32 v16, v23 :: v_dual_mov_b32 v17, v24
	s_mov_b32 s23, s7
.LBB15_26:                              ;   Parent Loop BB15_13 Depth=1
                                        ; =>  This Inner Loop Header: Depth=2
	ds_load_b64 v[18:19], v16
	ds_load_b64 v[28:29], v17
	v_dual_add_nc_u32 v17, 8, v17 :: v_dual_add_nc_u32 v16, 8, v16
	s_add_co_i32 s23, s23, -1
	s_delay_alu instid0(SALU_CYCLE_1)
	s_cmp_lg_u32 s23, 0
	s_wait_dscnt 0x0
	v_fmac_f64_e32 v[2:3], v[18:19], v[28:29]
	s_cbranch_scc1 .LBB15_26
	s_branch .LBB15_11
.LBB15_27:
	v_mov_b32_e32 v10, 0
	s_delay_alu instid0(VALU_DEP_1)
	v_dual_mov_b32 v11, v10 :: v_dual_mov_b32 v2, v10
	v_mov_b32_e32 v3, v10
.LBB15_28:
	s_load_b64 s[4:5], s[0:1], 0x68
	s_and_b32 s2, s24, vcc_lo
	s_delay_alu instid0(SALU_CYCLE_1)
	s_and_b32 exec_lo, exec_lo, s2
	s_cbranch_execz .LBB15_51
; %bb.29:
	s_load_b64 s[2:3], s[0:1], 0x70
	v_mad_u32 v12, s7, s6, v20
	s_wait_xcnt 0x0
	v_cmp_neq_f64_e64 s0, 0, v[6:7]
	s_cmp_lg_u32 s20, 1
	s_cselect_b32 s1, -1, 0
	v_ashrrev_i32_e32 v13, 31, v12
	s_wait_kmcnt 0x0
	s_delay_alu instid0(VALU_DEP_1) | instskip(SKIP_1) | instid1(VALU_DEP_2)
	v_mul_u64_e32 v[14:15], s[2:3], v[12:13]
	v_lshl_add_u64 v[12:13], v[12:13], 3, s[4:5]
	v_lshl_add_u64 v[14:15], v[14:15], 3, s[4:5]
	s_mov_b32 s4, exec_lo
	v_cmpx_gt_i32_e64 s11, v8
	s_cbranch_execz .LBB15_40
; %bb.30:
	v_ashrrev_i32_e32 v9, 31, v8
	s_and_saveexec_b32 s5, s0
	s_delay_alu instid0(SALU_CYCLE_1)
	s_xor_b32 s5, exec_lo, s5
	s_cbranch_execz .LBB15_35
; %bb.31:
	s_and_b32 vcc_lo, exec_lo, s1
	s_mov_b32 s6, -1
	s_cbranch_vccz .LBB15_33
; %bb.32:
	v_lshl_add_u64 v[16:17], v[8:9], 3, v[14:15]
	v_mul_f64_e32 v[20:21], v[4:5], v[10:11]
	s_mov_b32 s6, 0
	global_load_b64 v[18:19], v[16:17], off
	s_wait_loadcnt 0x0
	v_fmac_f64_e32 v[20:21], v[6:7], v[18:19]
	global_store_b64 v[16:17], v[20:21], off
.LBB15_33:
	s_and_not1_b32 vcc_lo, exec_lo, s6
	s_cbranch_vccnz .LBB15_35
; %bb.34:
	v_mul_u64_e32 v[8:9], s[2:3], v[8:9]
	v_mul_f64_e32 v[18:19], v[4:5], v[10:11]
	s_delay_alu instid0(VALU_DEP_2)
	v_lshl_add_u64 v[8:9], v[8:9], 3, v[12:13]
	global_load_b64 v[16:17], v[8:9], off
	s_wait_loadcnt 0x0
	v_fmac_f64_e32 v[18:19], v[6:7], v[16:17]
	global_store_b64 v[8:9], v[18:19], off
                                        ; implicit-def: $vgpr8
.LBB15_35:
	s_wait_xcnt 0x0
	s_and_not1_saveexec_b32 s5, s5
	s_cbranch_execz .LBB15_40
; %bb.36:
	v_mul_f64_e32 v[10:11], v[4:5], v[10:11]
	s_and_b32 vcc_lo, exec_lo, s1
	s_mov_b32 s5, -1
	s_cbranch_vccz .LBB15_38
; %bb.37:
	v_lshl_add_u64 v[16:17], v[8:9], 3, v[14:15]
	s_mov_b32 s5, 0
	global_store_b64 v[16:17], v[10:11], off
.LBB15_38:
	s_and_not1_b32 vcc_lo, exec_lo, s5
	s_cbranch_vccnz .LBB15_40
; %bb.39:
	v_mul_u64_e32 v[8:9], s[2:3], v[8:9]
	s_delay_alu instid0(VALU_DEP_1)
	v_lshl_add_u64 v[8:9], v[8:9], 3, v[12:13]
	global_store_b64 v[8:9], v[10:11], off
.LBB15_40:
	s_wait_xcnt 0x0
	s_or_b32 exec_lo, exec_lo, s4
	v_cmp_gt_i32_e32 vcc_lo, s11, v0
	s_and_b32 exec_lo, exec_lo, vcc_lo
	s_cbranch_execz .LBB15_51
; %bb.41:
	v_ashrrev_i32_e32 v1, 31, v0
	v_cndmask_b32_e64 v8, 0, 1, s1
	s_and_saveexec_b32 s1, s0
	s_delay_alu instid0(SALU_CYCLE_1)
	s_xor_b32 s0, exec_lo, s1
	s_cbranch_execz .LBB15_46
; %bb.42:
	s_delay_alu instid0(VALU_DEP_1)
	v_cmp_ne_u32_e32 vcc_lo, 1, v8
	s_mov_b32 s1, -1
	s_cbranch_vccnz .LBB15_44
; %bb.43:
	v_lshl_add_u64 v[8:9], v[0:1], 3, v[14:15]
	v_mul_f64_e32 v[14:15], v[4:5], v[2:3]
	s_mov_b32 s1, 0
	global_load_b64 v[10:11], v[8:9], off
	s_wait_loadcnt 0x0
	v_fmac_f64_e32 v[14:15], v[6:7], v[10:11]
	global_store_b64 v[8:9], v[14:15], off
.LBB15_44:
	s_and_not1_b32 vcc_lo, exec_lo, s1
                                        ; implicit-def: $vgpr8
                                        ; implicit-def: $vgpr14_vgpr15
	s_cbranch_vccnz .LBB15_46
; %bb.45:
	v_mul_u64_e32 v[0:1], s[2:3], v[0:1]
	v_mul_f64_e32 v[2:3], v[4:5], v[2:3]
                                        ; implicit-def: $vgpr4_vgpr5
                                        ; implicit-def: $vgpr14_vgpr15
	s_delay_alu instid0(VALU_DEP_2)
	v_lshl_add_u64 v[0:1], v[0:1], 3, v[12:13]
                                        ; implicit-def: $vgpr12_vgpr13
	global_load_b64 v[8:9], v[0:1], off
	s_wait_loadcnt 0x0
	v_fmac_f64_e32 v[2:3], v[6:7], v[8:9]
                                        ; implicit-def: $vgpr8
	global_store_b64 v[0:1], v[2:3], off
                                        ; implicit-def: $vgpr0_vgpr1_vgpr2_vgpr3
                                        ; implicit-def: $vgpr0
.LBB15_46:
	s_wait_xcnt 0x0
	s_and_not1_saveexec_b32 s0, s0
	s_cbranch_execz .LBB15_51
; %bb.47:
	v_mul_f64_e32 v[2:3], v[4:5], v[2:3]
	v_cmp_ne_u32_e32 vcc_lo, 1, v8
	s_mov_b32 s0, -1
	s_cbranch_vccnz .LBB15_49
; %bb.48:
	v_lshl_add_u64 v[4:5], v[0:1], 3, v[14:15]
	s_mov_b32 s0, 0
	global_store_b64 v[4:5], v[2:3], off
.LBB15_49:
	s_and_not1_b32 vcc_lo, exec_lo, s0
	s_cbranch_vccnz .LBB15_51
; %bb.50:
	v_mul_u64_e32 v[0:1], s[2:3], v[0:1]
	s_delay_alu instid0(VALU_DEP_1)
	v_lshl_add_u64 v[0:1], v[0:1], 3, v[12:13]
	global_store_b64 v[0:1], v[2:3], off
.LBB15_51:
	s_endpgm
	.section	.rodata,"a",@progbits
	.p2align	6, 0x0
	.amdhsa_kernel _ZN9rocsparseL31bsrmm_large_blockdim_kernel_extILj32ELj32ELj2EiiddddEEvb20rocsparse_direction_T3_S2_llNS_24const_host_device_scalarIT7_EEPKT2_PKS2_PKT4_S2_PKT5_llS5_PT6_ll16rocsparse_order_21rocsparse_index_base_b
		.amdhsa_group_segment_fixed_size 24576
		.amdhsa_private_segment_fixed_size 0
		.amdhsa_kernarg_size 140
		.amdhsa_user_sgpr_count 2
		.amdhsa_user_sgpr_dispatch_ptr 0
		.amdhsa_user_sgpr_queue_ptr 0
		.amdhsa_user_sgpr_kernarg_segment_ptr 1
		.amdhsa_user_sgpr_dispatch_id 0
		.amdhsa_user_sgpr_kernarg_preload_length 0
		.amdhsa_user_sgpr_kernarg_preload_offset 0
		.amdhsa_user_sgpr_private_segment_size 0
		.amdhsa_wavefront_size32 1
		.amdhsa_uses_dynamic_stack 0
		.amdhsa_enable_private_segment 0
		.amdhsa_system_sgpr_workgroup_id_x 1
		.amdhsa_system_sgpr_workgroup_id_y 1
		.amdhsa_system_sgpr_workgroup_id_z 0
		.amdhsa_system_sgpr_workgroup_info 0
		.amdhsa_system_vgpr_workitem_id 1
		.amdhsa_next_free_vgpr 32
		.amdhsa_next_free_sgpr 28
		.amdhsa_named_barrier_count 0
		.amdhsa_reserve_vcc 1
		.amdhsa_float_round_mode_32 0
		.amdhsa_float_round_mode_16_64 0
		.amdhsa_float_denorm_mode_32 3
		.amdhsa_float_denorm_mode_16_64 3
		.amdhsa_fp16_overflow 0
		.amdhsa_memory_ordered 1
		.amdhsa_forward_progress 1
		.amdhsa_inst_pref_size 14
		.amdhsa_round_robin_scheduling 0
		.amdhsa_exception_fp_ieee_invalid_op 0
		.amdhsa_exception_fp_denorm_src 0
		.amdhsa_exception_fp_ieee_div_zero 0
		.amdhsa_exception_fp_ieee_overflow 0
		.amdhsa_exception_fp_ieee_underflow 0
		.amdhsa_exception_fp_ieee_inexact 0
		.amdhsa_exception_int_div_zero 0
	.end_amdhsa_kernel
	.section	.text._ZN9rocsparseL31bsrmm_large_blockdim_kernel_extILj32ELj32ELj2EiiddddEEvb20rocsparse_direction_T3_S2_llNS_24const_host_device_scalarIT7_EEPKT2_PKS2_PKT4_S2_PKT5_llS5_PT6_ll16rocsparse_order_21rocsparse_index_base_b,"axG",@progbits,_ZN9rocsparseL31bsrmm_large_blockdim_kernel_extILj32ELj32ELj2EiiddddEEvb20rocsparse_direction_T3_S2_llNS_24const_host_device_scalarIT7_EEPKT2_PKS2_PKT4_S2_PKT5_llS5_PT6_ll16rocsparse_order_21rocsparse_index_base_b,comdat
.Lfunc_end15:
	.size	_ZN9rocsparseL31bsrmm_large_blockdim_kernel_extILj32ELj32ELj2EiiddddEEvb20rocsparse_direction_T3_S2_llNS_24const_host_device_scalarIT7_EEPKT2_PKS2_PKT4_S2_PKT5_llS5_PT6_ll16rocsparse_order_21rocsparse_index_base_b, .Lfunc_end15-_ZN9rocsparseL31bsrmm_large_blockdim_kernel_extILj32ELj32ELj2EiiddddEEvb20rocsparse_direction_T3_S2_llNS_24const_host_device_scalarIT7_EEPKT2_PKS2_PKT4_S2_PKT5_llS5_PT6_ll16rocsparse_order_21rocsparse_index_base_b
                                        ; -- End function
	.set _ZN9rocsparseL31bsrmm_large_blockdim_kernel_extILj32ELj32ELj2EiiddddEEvb20rocsparse_direction_T3_S2_llNS_24const_host_device_scalarIT7_EEPKT2_PKS2_PKT4_S2_PKT5_llS5_PT6_ll16rocsparse_order_21rocsparse_index_base_b.num_vgpr, 32
	.set _ZN9rocsparseL31bsrmm_large_blockdim_kernel_extILj32ELj32ELj2EiiddddEEvb20rocsparse_direction_T3_S2_llNS_24const_host_device_scalarIT7_EEPKT2_PKS2_PKT4_S2_PKT5_llS5_PT6_ll16rocsparse_order_21rocsparse_index_base_b.num_agpr, 0
	.set _ZN9rocsparseL31bsrmm_large_blockdim_kernel_extILj32ELj32ELj2EiiddddEEvb20rocsparse_direction_T3_S2_llNS_24const_host_device_scalarIT7_EEPKT2_PKS2_PKT4_S2_PKT5_llS5_PT6_ll16rocsparse_order_21rocsparse_index_base_b.numbered_sgpr, 28
	.set _ZN9rocsparseL31bsrmm_large_blockdim_kernel_extILj32ELj32ELj2EiiddddEEvb20rocsparse_direction_T3_S2_llNS_24const_host_device_scalarIT7_EEPKT2_PKS2_PKT4_S2_PKT5_llS5_PT6_ll16rocsparse_order_21rocsparse_index_base_b.num_named_barrier, 0
	.set _ZN9rocsparseL31bsrmm_large_blockdim_kernel_extILj32ELj32ELj2EiiddddEEvb20rocsparse_direction_T3_S2_llNS_24const_host_device_scalarIT7_EEPKT2_PKS2_PKT4_S2_PKT5_llS5_PT6_ll16rocsparse_order_21rocsparse_index_base_b.private_seg_size, 0
	.set _ZN9rocsparseL31bsrmm_large_blockdim_kernel_extILj32ELj32ELj2EiiddddEEvb20rocsparse_direction_T3_S2_llNS_24const_host_device_scalarIT7_EEPKT2_PKS2_PKT4_S2_PKT5_llS5_PT6_ll16rocsparse_order_21rocsparse_index_base_b.uses_vcc, 1
	.set _ZN9rocsparseL31bsrmm_large_blockdim_kernel_extILj32ELj32ELj2EiiddddEEvb20rocsparse_direction_T3_S2_llNS_24const_host_device_scalarIT7_EEPKT2_PKS2_PKT4_S2_PKT5_llS5_PT6_ll16rocsparse_order_21rocsparse_index_base_b.uses_flat_scratch, 0
	.set _ZN9rocsparseL31bsrmm_large_blockdim_kernel_extILj32ELj32ELj2EiiddddEEvb20rocsparse_direction_T3_S2_llNS_24const_host_device_scalarIT7_EEPKT2_PKS2_PKT4_S2_PKT5_llS5_PT6_ll16rocsparse_order_21rocsparse_index_base_b.has_dyn_sized_stack, 0
	.set _ZN9rocsparseL31bsrmm_large_blockdim_kernel_extILj32ELj32ELj2EiiddddEEvb20rocsparse_direction_T3_S2_llNS_24const_host_device_scalarIT7_EEPKT2_PKS2_PKT4_S2_PKT5_llS5_PT6_ll16rocsparse_order_21rocsparse_index_base_b.has_recursion, 0
	.set _ZN9rocsparseL31bsrmm_large_blockdim_kernel_extILj32ELj32ELj2EiiddddEEvb20rocsparse_direction_T3_S2_llNS_24const_host_device_scalarIT7_EEPKT2_PKS2_PKT4_S2_PKT5_llS5_PT6_ll16rocsparse_order_21rocsparse_index_base_b.has_indirect_call, 0
	.section	.AMDGPU.csdata,"",@progbits
; Kernel info:
; codeLenInByte = 1668
; TotalNumSgprs: 30
; NumVgprs: 32
; ScratchSize: 0
; MemoryBound: 0
; FloatMode: 240
; IeeeMode: 1
; LDSByteSize: 24576 bytes/workgroup (compile time only)
; SGPRBlocks: 0
; VGPRBlocks: 1
; NumSGPRsForWavesPerEU: 30
; NumVGPRsForWavesPerEU: 32
; NamedBarCnt: 0
; Occupancy: 16
; WaveLimiterHint : 1
; COMPUTE_PGM_RSRC2:SCRATCH_EN: 0
; COMPUTE_PGM_RSRC2:USER_SGPR: 2
; COMPUTE_PGM_RSRC2:TRAP_HANDLER: 0
; COMPUTE_PGM_RSRC2:TGID_X_EN: 1
; COMPUTE_PGM_RSRC2:TGID_Y_EN: 1
; COMPUTE_PGM_RSRC2:TGID_Z_EN: 0
; COMPUTE_PGM_RSRC2:TIDIG_COMP_CNT: 1
	.section	.text._ZN9rocsparseL31bsrmm_large_blockdim_kernel_extILj8ELj8ELj2EliddddEEvb20rocsparse_direction_T3_S2_llNS_24const_host_device_scalarIT7_EEPKT2_PKS2_PKT4_S2_PKT5_llS5_PT6_ll16rocsparse_order_21rocsparse_index_base_b,"axG",@progbits,_ZN9rocsparseL31bsrmm_large_blockdim_kernel_extILj8ELj8ELj2EliddddEEvb20rocsparse_direction_T3_S2_llNS_24const_host_device_scalarIT7_EEPKT2_PKS2_PKT4_S2_PKT5_llS5_PT6_ll16rocsparse_order_21rocsparse_index_base_b,comdat
	.globl	_ZN9rocsparseL31bsrmm_large_blockdim_kernel_extILj8ELj8ELj2EliddddEEvb20rocsparse_direction_T3_S2_llNS_24const_host_device_scalarIT7_EEPKT2_PKS2_PKT4_S2_PKT5_llS5_PT6_ll16rocsparse_order_21rocsparse_index_base_b ; -- Begin function _ZN9rocsparseL31bsrmm_large_blockdim_kernel_extILj8ELj8ELj2EliddddEEvb20rocsparse_direction_T3_S2_llNS_24const_host_device_scalarIT7_EEPKT2_PKS2_PKT4_S2_PKT5_llS5_PT6_ll16rocsparse_order_21rocsparse_index_base_b
	.p2align	8
	.type	_ZN9rocsparseL31bsrmm_large_blockdim_kernel_extILj8ELj8ELj2EliddddEEvb20rocsparse_direction_T3_S2_llNS_24const_host_device_scalarIT7_EEPKT2_PKS2_PKT4_S2_PKT5_llS5_PT6_ll16rocsparse_order_21rocsparse_index_base_b,@function
_ZN9rocsparseL31bsrmm_large_blockdim_kernel_extILj8ELj8ELj2EliddddEEvb20rocsparse_direction_T3_S2_llNS_24const_host_device_scalarIT7_EEPKT2_PKS2_PKT4_S2_PKT5_llS5_PT6_ll16rocsparse_order_21rocsparse_index_base_b: ; @_ZN9rocsparseL31bsrmm_large_blockdim_kernel_extILj8ELj8ELj2EliddddEEvb20rocsparse_direction_T3_S2_llNS_24const_host_device_scalarIT7_EEPKT2_PKS2_PKT4_S2_PKT5_llS5_PT6_ll16rocsparse_order_21rocsparse_index_base_b
; %bb.0:
	s_clause 0x2
	s_load_b96 s[20:22], s[0:1], 0x80
	s_load_b64 s[4:5], s[0:1], 0x20
	s_load_b64 s[2:3], s[0:1], 0x60
	s_wait_kmcnt 0x0
	s_bitcmp1_b32 s22, 0
	v_mov_b64_e32 v[4:5], s[4:5]
	s_cselect_b32 s6, -1, 0
	s_delay_alu instid0(SALU_CYCLE_1)
	s_and_b32 vcc_lo, exec_lo, s6
	s_xor_b32 s6, s6, -1
	s_cbranch_vccnz .LBB16_2
; %bb.1:
	v_mov_b32_e32 v1, 0
	flat_load_b64 v[4:5], v1, s[4:5]
.LBB16_2:
	v_mov_b64_e32 v[6:7], s[2:3]
	s_and_not1_b32 vcc_lo, exec_lo, s6
	s_cbranch_vccnz .LBB16_4
; %bb.3:
	s_wait_xcnt 0x0
	v_mov_b32_e32 v1, 0
	flat_load_b64 v[6:7], v1, s[2:3]
.LBB16_4:
	s_wait_loadcnt_dscnt 0x0
	v_cmp_neq_f64_e32 vcc_lo, 0, v[4:5]
	s_delay_alu instid0(VALU_DEP_2) | instskip(SKIP_2) | instid1(SALU_CYCLE_1)
	v_cmp_neq_f64_e64 s2, 1.0, v[6:7]
	s_mov_b64 s[22:23], 0
	s_or_b32 s2, vcc_lo, s2
	s_and_saveexec_b32 s3, s2
	s_cbranch_execz .LBB16_51
; %bb.5:
	s_clause 0x1
	s_load_b128 s[8:11], s[0:1], 0x0
	s_load_b64 s[2:3], s[0:1], 0x28
	s_bfe_u32 s4, ttmp6, 0x4000c
	s_and_b32 s5, ttmp6, 15
	s_add_co_i32 s4, s4, 1
	s_getreg_b32 s12, hwreg(HW_REG_IB_STS2, 6, 4)
	s_mul_i32 s4, ttmp9, s4
	s_delay_alu instid0(SALU_CYCLE_1)
	s_add_co_i32 s5, s5, s4
	s_cmp_eq_u32 s12, 0
	s_cselect_b32 s6, ttmp9, s5
	s_mov_b32 s5, 0
	s_wait_kmcnt 0x0
	s_cmp_lt_i32 s6, s10
	s_cselect_b32 s28, -1, 0
	s_cmp_ge_i32 s6, s10
	s_cbranch_scc1 .LBB16_7
; %bb.6:
	s_ashr_i32 s7, s6, 31
	s_mov_b32 s4, s21
	s_lshl_b64 s[14:15], s[6:7], 3
	s_delay_alu instid0(SALU_CYCLE_1)
	s_add_nc_u64 s[14:15], s[2:3], s[14:15]
	s_load_b64 s[14:15], s[14:15], 0x0
	s_wait_kmcnt 0x0
	s_sub_nc_u64 s[22:23], s[14:15], s[4:5]
.LBB16_7:
	s_and_not1_b32 vcc_lo, exec_lo, s28
	s_mov_b64 s[24:25], 0
	s_cbranch_vccnz .LBB16_9
; %bb.8:
	s_ashr_i32 s7, s6, 31
	s_delay_alu instid0(SALU_CYCLE_1) | instskip(NEXT) | instid1(SALU_CYCLE_1)
	s_lshl_b64 s[4:5], s[6:7], 3
	s_add_nc_u64 s[2:3], s[2:3], s[4:5]
	s_mov_b32 s5, 0
	s_load_b64 s[2:3], s[2:3], 0x8
	s_mov_b32 s4, s21
	s_wait_kmcnt 0x0
	s_sub_nc_u64 s[24:25], s[2:3], s[4:5]
.LBB16_9:
	s_bfe_u32 s2, ttmp6, 0x40010
	s_load_b32 s7, s[0:1], 0x40
	s_add_co_i32 s2, s2, 1
	s_bfe_u32 s3, ttmp6, 0x40004
	s_mul_i32 s2, ttmp7, s2
	v_bfe_u32 v2, v0, 10, 10
	s_add_co_i32 s3, s3, s2
	s_cmp_eq_u32 s12, 0
	v_and_b32_e32 v22, 0x3ff, v0
	s_cselect_b32 s2, ttmp7, s3
	s_mov_b32 s27, 0
	v_lshl_add_u32 v8, s2, 4, v2
	v_cmp_ge_i64_e64 s2, s[22:23], s[24:25]
	s_delay_alu instid0(VALU_DEP_2)
	v_add_nc_u32_e32 v0, 8, v8
	v_cmp_gt_i32_e64 s3, s11, v8
	s_and_b32 vcc_lo, exec_lo, s2
	s_wait_kmcnt 0x0
	v_cmp_gt_i32_e64 s2, s7, v22
	v_cmp_gt_i32_e64 s4, s11, v0
	s_cbranch_vccnz .LBB16_27
; %bb.10:
	s_clause 0x1
	s_load_b128 s[12:15], s[0:1], 0x30
	s_load_b128 s[16:19], s[0:1], 0x48
	v_mul_lo_u32 v10, s7, v2
	v_dual_mov_b32 v11, 0 :: v_dual_ashrrev_i32 v9, 31, v8
	v_dual_ashrrev_i32 v1, 31, v0 :: v_dual_lshlrev_b32 v18, 3, v2
	v_cmp_gt_i32_e32 vcc_lo, s7, v2
	s_delay_alu instid0(VALU_DEP_3)
	v_dual_mov_b32 v21, v11 :: v_dual_lshlrev_b32 v20, 3, v22
	v_dual_lshlrev_b32 v23, 6, v2 :: v_dual_mov_b32 v19, v11
	s_and_b32 s10, s2, vcc_lo
	s_bitcmp1_b32 s8, 0
	v_add_nc_u32_e32 v28, 0x400, v18
	s_cselect_b32 s5, -1, 0
	s_cmp_eq_u32 s9, 0
	v_add_nc_u32_e32 v26, v20, v23
	s_cselect_b32 vcc_lo, -1, 0
	s_mul_i32 s26, s7, s7
	s_wait_kmcnt 0x0
	v_lshl_add_u64 v[16:17], v[10:11], 3, s[14:15]
	v_mul_u64_e32 v[12:13], s[18:19], v[8:9]
	v_mul_u64_e32 v[14:15], s[18:19], v[0:1]
	v_mul_lo_u32 v10, s7, v22
	s_delay_alu instid0(VALU_DEP_4) | instskip(NEXT) | instid1(VALU_DEP_2)
	v_add_nc_u64_e32 v[16:17], v[16:17], v[20:21]
	v_lshl_add_u64 v[2:3], v[10:11], 3, s[14:15]
	v_mov_b32_e32 v10, v11
	s_delay_alu instid0(VALU_DEP_2) | instskip(SKIP_1) | instid1(VALU_DEP_2)
	v_add_nc_u64_e32 v[2:3], v[2:3], v[18:19]
	v_lshlrev_b32_e32 v27, 6, v22
	v_dual_cndmask_b32 v16, v16, v2 :: v_dual_add_nc_u32 v25, 0x200, v23
	s_delay_alu instid0(VALU_DEP_3) | instskip(NEXT) | instid1(VALU_DEP_3)
	v_cndmask_b32_e32 v17, v17, v3, vcc_lo
	v_add_nc_u32_e32 v24, 0x400, v27
	v_dual_mov_b32 v2, v11 :: v_dual_mov_b32 v3, v11
	v_add_nc_u32_e32 v27, v28, v27
	s_branch .LBB16_13
.LBB16_11:                              ;   in Loop: Header=BB16_13 Depth=1
	s_or_b32 exec_lo, exec_lo, s9
.LBB16_12:                              ;   in Loop: Header=BB16_13 Depth=1
	s_delay_alu instid0(SALU_CYCLE_1) | instskip(SKIP_1) | instid1(SALU_CYCLE_1)
	s_or_b32 exec_lo, exec_lo, s8
	s_add_nc_u64 s[22:23], s[22:23], 1
	v_cmp_ge_i64_e64 s8, s[22:23], s[24:25]
	s_barrier_signal -1
	s_barrier_wait -1
	s_and_b32 vcc_lo, exec_lo, s8
	s_cbranch_vccnz .LBB16_28
.LBB16_13:                              ; =>This Loop Header: Depth=1
                                        ;     Child Loop BB16_23 Depth 2
                                        ;     Child Loop BB16_26 Depth 2
	s_and_saveexec_b32 s8, s2
	s_cbranch_execz .LBB16_18
; %bb.14:                               ;   in Loop: Header=BB16_13 Depth=1
	s_lshl_b64 s[14:15], s[22:23], 2
	s_delay_alu instid0(SALU_CYCLE_1) | instskip(SKIP_3) | instid1(SALU_CYCLE_1)
	s_add_nc_u64 s[14:15], s[12:13], s[14:15]
	s_load_b32 s9, s[14:15], 0x0
	s_wait_kmcnt 0x0
	s_sub_co_i32 s9, s9, s21
	v_mad_u32 v20, s9, s7, v22
	s_delay_alu instid0(VALU_DEP_1) | instskip(NEXT) | instid1(VALU_DEP_1)
	v_ashrrev_i32_e32 v21, 31, v20
	v_mul_u64_e32 v[18:19], s[18:19], v[20:21]
	v_lshl_add_u64 v[20:21], v[20:21], 3, s[16:17]
	s_delay_alu instid0(VALU_DEP_2)
	v_lshl_add_u64 v[18:19], v[18:19], 3, s[16:17]
	s_and_saveexec_b32 s9, s3
	s_cbranch_execz .LBB16_16
; %bb.15:                               ;   in Loop: Header=BB16_13 Depth=1
	s_delay_alu instid0(VALU_DEP_1) | instskip(SKIP_1) | instid1(VALU_DEP_1)
	v_lshl_add_u64 v[28:29], v[8:9], 3, v[18:19]
	v_lshl_add_u64 v[30:31], v[12:13], 3, v[20:21]
	v_dual_cndmask_b32 v29, v29, v31, s5 :: v_dual_cndmask_b32 v28, v28, v30, s5
	global_load_b64 v[28:29], v[28:29], off
	s_wait_loadcnt 0x0
	ds_store_b64 v26, v[28:29]
.LBB16_16:                              ;   in Loop: Header=BB16_13 Depth=1
	s_or_b32 exec_lo, exec_lo, s9
	s_delay_alu instid0(SALU_CYCLE_1)
	s_and_b32 exec_lo, exec_lo, s4
	s_cbranch_execz .LBB16_18
; %bb.17:                               ;   in Loop: Header=BB16_13 Depth=1
	v_lshl_add_u64 v[20:21], v[14:15], 3, v[20:21]
	v_lshl_add_u64 v[18:19], v[0:1], 3, v[18:19]
	s_delay_alu instid0(VALU_DEP_1)
	v_dual_cndmask_b32 v19, v19, v21, s5 :: v_dual_cndmask_b32 v18, v18, v20, s5
	global_load_b64 v[18:19], v[18:19], off
	s_wait_loadcnt 0x0
	ds_store_b64 v26, v[18:19] offset:512
.LBB16_18:                              ;   in Loop: Header=BB16_13 Depth=1
	s_or_b32 exec_lo, exec_lo, s8
	s_and_saveexec_b32 s8, s10
	s_cbranch_execz .LBB16_20
; %bb.19:                               ;   in Loop: Header=BB16_13 Depth=1
	s_mul_u64 s[14:15], s[22:23], s[26:27]
	s_delay_alu instid0(SALU_CYCLE_1)
	v_lshl_add_u64 v[18:19], s[14:15], 3, v[16:17]
	global_load_b64 v[18:19], v[18:19], off
	s_wait_loadcnt 0x0
	ds_store_b64 v27, v[18:19]
.LBB16_20:                              ;   in Loop: Header=BB16_13 Depth=1
	s_or_b32 exec_lo, exec_lo, s8
	s_wait_dscnt 0x0
	s_barrier_signal -1
	s_barrier_wait -1
	s_and_saveexec_b32 s8, s2
	s_cbranch_execz .LBB16_12
; %bb.21:                               ;   in Loop: Header=BB16_13 Depth=1
	s_and_saveexec_b32 s9, s3
	s_cbranch_execz .LBB16_24
; %bb.22:                               ;   in Loop: Header=BB16_13 Depth=1
	v_dual_mov_b32 v18, v24 :: v_dual_mov_b32 v19, v23
	s_mov_b32 s14, s7
.LBB16_23:                              ;   Parent Loop BB16_13 Depth=1
                                        ; =>  This Inner Loop Header: Depth=2
	ds_load_b64 v[20:21], v18
	ds_load_b64 v[28:29], v19
	v_dual_add_nc_u32 v19, 8, v19 :: v_dual_add_nc_u32 v18, 8, v18
	s_add_co_i32 s14, s14, -1
	s_delay_alu instid0(SALU_CYCLE_1)
	s_cmp_lg_u32 s14, 0
	s_wait_dscnt 0x0
	v_fmac_f64_e32 v[10:11], v[20:21], v[28:29]
	s_cbranch_scc1 .LBB16_23
.LBB16_24:                              ;   in Loop: Header=BB16_13 Depth=1
	s_or_b32 exec_lo, exec_lo, s9
	s_and_saveexec_b32 s9, s4
	s_cbranch_execz .LBB16_11
; %bb.25:                               ;   in Loop: Header=BB16_13 Depth=1
	v_dual_mov_b32 v18, v24 :: v_dual_mov_b32 v19, v25
	s_mov_b32 s14, s7
.LBB16_26:                              ;   Parent Loop BB16_13 Depth=1
                                        ; =>  This Inner Loop Header: Depth=2
	ds_load_b64 v[20:21], v18
	ds_load_b64 v[28:29], v19
	v_dual_add_nc_u32 v19, 8, v19 :: v_dual_add_nc_u32 v18, 8, v18
	s_add_co_i32 s14, s14, -1
	s_delay_alu instid0(SALU_CYCLE_1)
	s_cmp_lg_u32 s14, 0
	s_wait_dscnt 0x0
	v_fmac_f64_e32 v[2:3], v[20:21], v[28:29]
	s_cbranch_scc1 .LBB16_26
	s_branch .LBB16_11
.LBB16_27:
	v_mov_b32_e32 v10, 0
	s_delay_alu instid0(VALU_DEP_1)
	v_dual_mov_b32 v11, v10 :: v_dual_mov_b32 v2, v10
	v_mov_b32_e32 v3, v10
.LBB16_28:
	s_load_b64 s[4:5], s[0:1], 0x68
	s_and_b32 s2, s28, s2
	s_delay_alu instid0(SALU_CYCLE_1)
	s_and_b32 exec_lo, exec_lo, s2
	s_cbranch_execz .LBB16_51
; %bb.29:
	s_load_b64 s[2:3], s[0:1], 0x70
	v_mad_u32 v12, s7, s6, v22
	s_wait_xcnt 0x0
	v_cmp_neq_f64_e64 s0, 0, v[6:7]
	s_cmp_lg_u32 s20, 1
	s_cselect_b32 s1, -1, 0
	v_ashrrev_i32_e32 v13, 31, v12
	s_wait_kmcnt 0x0
	s_delay_alu instid0(VALU_DEP_1) | instskip(SKIP_1) | instid1(VALU_DEP_2)
	v_mul_u64_e32 v[14:15], s[2:3], v[12:13]
	v_lshl_add_u64 v[12:13], v[12:13], 3, s[4:5]
	v_lshl_add_u64 v[14:15], v[14:15], 3, s[4:5]
	s_mov_b32 s4, exec_lo
	v_cmpx_gt_i32_e64 s11, v8
	s_cbranch_execz .LBB16_40
; %bb.30:
	v_ashrrev_i32_e32 v9, 31, v8
	s_and_saveexec_b32 s5, s0
	s_delay_alu instid0(SALU_CYCLE_1)
	s_xor_b32 s5, exec_lo, s5
	s_cbranch_execz .LBB16_35
; %bb.31:
	s_and_b32 vcc_lo, exec_lo, s1
	s_mov_b32 s6, -1
	s_cbranch_vccz .LBB16_33
; %bb.32:
	v_lshl_add_u64 v[16:17], v[8:9], 3, v[14:15]
	v_mul_f64_e32 v[20:21], v[4:5], v[10:11]
	s_mov_b32 s6, 0
	global_load_b64 v[18:19], v[16:17], off
	s_wait_loadcnt 0x0
	v_fmac_f64_e32 v[20:21], v[6:7], v[18:19]
	global_store_b64 v[16:17], v[20:21], off
.LBB16_33:
	s_and_not1_b32 vcc_lo, exec_lo, s6
	s_cbranch_vccnz .LBB16_35
; %bb.34:
	v_mul_u64_e32 v[8:9], s[2:3], v[8:9]
	v_mul_f64_e32 v[18:19], v[4:5], v[10:11]
	s_delay_alu instid0(VALU_DEP_2)
	v_lshl_add_u64 v[8:9], v[8:9], 3, v[12:13]
	global_load_b64 v[16:17], v[8:9], off
	s_wait_loadcnt 0x0
	v_fmac_f64_e32 v[18:19], v[6:7], v[16:17]
	global_store_b64 v[8:9], v[18:19], off
                                        ; implicit-def: $vgpr8
.LBB16_35:
	s_wait_xcnt 0x0
	s_and_not1_saveexec_b32 s5, s5
	s_cbranch_execz .LBB16_40
; %bb.36:
	v_mul_f64_e32 v[10:11], v[4:5], v[10:11]
	s_and_b32 vcc_lo, exec_lo, s1
	s_mov_b32 s5, -1
	s_cbranch_vccz .LBB16_38
; %bb.37:
	v_lshl_add_u64 v[16:17], v[8:9], 3, v[14:15]
	s_mov_b32 s5, 0
	global_store_b64 v[16:17], v[10:11], off
.LBB16_38:
	s_and_not1_b32 vcc_lo, exec_lo, s5
	s_cbranch_vccnz .LBB16_40
; %bb.39:
	v_mul_u64_e32 v[8:9], s[2:3], v[8:9]
	s_delay_alu instid0(VALU_DEP_1)
	v_lshl_add_u64 v[8:9], v[8:9], 3, v[12:13]
	global_store_b64 v[8:9], v[10:11], off
.LBB16_40:
	s_wait_xcnt 0x0
	s_or_b32 exec_lo, exec_lo, s4
	v_cmp_gt_i32_e32 vcc_lo, s11, v0
	s_and_b32 exec_lo, exec_lo, vcc_lo
	s_cbranch_execz .LBB16_51
; %bb.41:
	v_ashrrev_i32_e32 v1, 31, v0
	v_cndmask_b32_e64 v8, 0, 1, s1
	s_and_saveexec_b32 s1, s0
	s_delay_alu instid0(SALU_CYCLE_1)
	s_xor_b32 s0, exec_lo, s1
	s_cbranch_execz .LBB16_46
; %bb.42:
	s_delay_alu instid0(VALU_DEP_1)
	v_cmp_ne_u32_e32 vcc_lo, 1, v8
	s_mov_b32 s1, -1
	s_cbranch_vccnz .LBB16_44
; %bb.43:
	v_lshl_add_u64 v[8:9], v[0:1], 3, v[14:15]
	v_mul_f64_e32 v[14:15], v[4:5], v[2:3]
	s_mov_b32 s1, 0
	global_load_b64 v[10:11], v[8:9], off
	s_wait_loadcnt 0x0
	v_fmac_f64_e32 v[14:15], v[6:7], v[10:11]
	global_store_b64 v[8:9], v[14:15], off
.LBB16_44:
	s_and_not1_b32 vcc_lo, exec_lo, s1
                                        ; implicit-def: $vgpr8
                                        ; implicit-def: $vgpr14_vgpr15
	s_cbranch_vccnz .LBB16_46
; %bb.45:
	v_mul_u64_e32 v[0:1], s[2:3], v[0:1]
	v_mul_f64_e32 v[2:3], v[4:5], v[2:3]
                                        ; implicit-def: $vgpr4_vgpr5
                                        ; implicit-def: $vgpr14_vgpr15
	s_delay_alu instid0(VALU_DEP_2)
	v_lshl_add_u64 v[0:1], v[0:1], 3, v[12:13]
                                        ; implicit-def: $vgpr12_vgpr13
	global_load_b64 v[8:9], v[0:1], off
	s_wait_loadcnt 0x0
	v_fmac_f64_e32 v[2:3], v[6:7], v[8:9]
                                        ; implicit-def: $vgpr8
	global_store_b64 v[0:1], v[2:3], off
                                        ; implicit-def: $vgpr0_vgpr1_vgpr2_vgpr3
                                        ; implicit-def: $vgpr0
.LBB16_46:
	s_wait_xcnt 0x0
	s_and_not1_saveexec_b32 s0, s0
	s_cbranch_execz .LBB16_51
; %bb.47:
	v_mul_f64_e32 v[2:3], v[4:5], v[2:3]
	v_cmp_ne_u32_e32 vcc_lo, 1, v8
	s_mov_b32 s0, -1
	s_cbranch_vccnz .LBB16_49
; %bb.48:
	v_lshl_add_u64 v[4:5], v[0:1], 3, v[14:15]
	s_mov_b32 s0, 0
	global_store_b64 v[4:5], v[2:3], off
.LBB16_49:
	s_and_not1_b32 vcc_lo, exec_lo, s0
	s_cbranch_vccnz .LBB16_51
; %bb.50:
	v_mul_u64_e32 v[0:1], s[2:3], v[0:1]
	s_delay_alu instid0(VALU_DEP_1)
	v_lshl_add_u64 v[0:1], v[0:1], 3, v[12:13]
	global_store_b64 v[0:1], v[2:3], off
.LBB16_51:
	s_endpgm
	.section	.rodata,"a",@progbits
	.p2align	6, 0x0
	.amdhsa_kernel _ZN9rocsparseL31bsrmm_large_blockdim_kernel_extILj8ELj8ELj2EliddddEEvb20rocsparse_direction_T3_S2_llNS_24const_host_device_scalarIT7_EEPKT2_PKS2_PKT4_S2_PKT5_llS5_PT6_ll16rocsparse_order_21rocsparse_index_base_b
		.amdhsa_group_segment_fixed_size 1536
		.amdhsa_private_segment_fixed_size 0
		.amdhsa_kernarg_size 140
		.amdhsa_user_sgpr_count 2
		.amdhsa_user_sgpr_dispatch_ptr 0
		.amdhsa_user_sgpr_queue_ptr 0
		.amdhsa_user_sgpr_kernarg_segment_ptr 1
		.amdhsa_user_sgpr_dispatch_id 0
		.amdhsa_user_sgpr_kernarg_preload_length 0
		.amdhsa_user_sgpr_kernarg_preload_offset 0
		.amdhsa_user_sgpr_private_segment_size 0
		.amdhsa_wavefront_size32 1
		.amdhsa_uses_dynamic_stack 0
		.amdhsa_enable_private_segment 0
		.amdhsa_system_sgpr_workgroup_id_x 1
		.amdhsa_system_sgpr_workgroup_id_y 1
		.amdhsa_system_sgpr_workgroup_id_z 0
		.amdhsa_system_sgpr_workgroup_info 0
		.amdhsa_system_vgpr_workitem_id 1
		.amdhsa_next_free_vgpr 32
		.amdhsa_next_free_sgpr 29
		.amdhsa_named_barrier_count 0
		.amdhsa_reserve_vcc 1
		.amdhsa_float_round_mode_32 0
		.amdhsa_float_round_mode_16_64 0
		.amdhsa_float_denorm_mode_32 3
		.amdhsa_float_denorm_mode_16_64 3
		.amdhsa_fp16_overflow 0
		.amdhsa_memory_ordered 1
		.amdhsa_forward_progress 1
		.amdhsa_inst_pref_size 14
		.amdhsa_round_robin_scheduling 0
		.amdhsa_exception_fp_ieee_invalid_op 0
		.amdhsa_exception_fp_denorm_src 0
		.amdhsa_exception_fp_ieee_div_zero 0
		.amdhsa_exception_fp_ieee_overflow 0
		.amdhsa_exception_fp_ieee_underflow 0
		.amdhsa_exception_fp_ieee_inexact 0
		.amdhsa_exception_int_div_zero 0
	.end_amdhsa_kernel
	.section	.text._ZN9rocsparseL31bsrmm_large_blockdim_kernel_extILj8ELj8ELj2EliddddEEvb20rocsparse_direction_T3_S2_llNS_24const_host_device_scalarIT7_EEPKT2_PKS2_PKT4_S2_PKT5_llS5_PT6_ll16rocsparse_order_21rocsparse_index_base_b,"axG",@progbits,_ZN9rocsparseL31bsrmm_large_blockdim_kernel_extILj8ELj8ELj2EliddddEEvb20rocsparse_direction_T3_S2_llNS_24const_host_device_scalarIT7_EEPKT2_PKS2_PKT4_S2_PKT5_llS5_PT6_ll16rocsparse_order_21rocsparse_index_base_b,comdat
.Lfunc_end16:
	.size	_ZN9rocsparseL31bsrmm_large_blockdim_kernel_extILj8ELj8ELj2EliddddEEvb20rocsparse_direction_T3_S2_llNS_24const_host_device_scalarIT7_EEPKT2_PKS2_PKT4_S2_PKT5_llS5_PT6_ll16rocsparse_order_21rocsparse_index_base_b, .Lfunc_end16-_ZN9rocsparseL31bsrmm_large_blockdim_kernel_extILj8ELj8ELj2EliddddEEvb20rocsparse_direction_T3_S2_llNS_24const_host_device_scalarIT7_EEPKT2_PKS2_PKT4_S2_PKT5_llS5_PT6_ll16rocsparse_order_21rocsparse_index_base_b
                                        ; -- End function
	.set _ZN9rocsparseL31bsrmm_large_blockdim_kernel_extILj8ELj8ELj2EliddddEEvb20rocsparse_direction_T3_S2_llNS_24const_host_device_scalarIT7_EEPKT2_PKS2_PKT4_S2_PKT5_llS5_PT6_ll16rocsparse_order_21rocsparse_index_base_b.num_vgpr, 32
	.set _ZN9rocsparseL31bsrmm_large_blockdim_kernel_extILj8ELj8ELj2EliddddEEvb20rocsparse_direction_T3_S2_llNS_24const_host_device_scalarIT7_EEPKT2_PKS2_PKT4_S2_PKT5_llS5_PT6_ll16rocsparse_order_21rocsparse_index_base_b.num_agpr, 0
	.set _ZN9rocsparseL31bsrmm_large_blockdim_kernel_extILj8ELj8ELj2EliddddEEvb20rocsparse_direction_T3_S2_llNS_24const_host_device_scalarIT7_EEPKT2_PKS2_PKT4_S2_PKT5_llS5_PT6_ll16rocsparse_order_21rocsparse_index_base_b.numbered_sgpr, 29
	.set _ZN9rocsparseL31bsrmm_large_blockdim_kernel_extILj8ELj8ELj2EliddddEEvb20rocsparse_direction_T3_S2_llNS_24const_host_device_scalarIT7_EEPKT2_PKS2_PKT4_S2_PKT5_llS5_PT6_ll16rocsparse_order_21rocsparse_index_base_b.num_named_barrier, 0
	.set _ZN9rocsparseL31bsrmm_large_blockdim_kernel_extILj8ELj8ELj2EliddddEEvb20rocsparse_direction_T3_S2_llNS_24const_host_device_scalarIT7_EEPKT2_PKS2_PKT4_S2_PKT5_llS5_PT6_ll16rocsparse_order_21rocsparse_index_base_b.private_seg_size, 0
	.set _ZN9rocsparseL31bsrmm_large_blockdim_kernel_extILj8ELj8ELj2EliddddEEvb20rocsparse_direction_T3_S2_llNS_24const_host_device_scalarIT7_EEPKT2_PKS2_PKT4_S2_PKT5_llS5_PT6_ll16rocsparse_order_21rocsparse_index_base_b.uses_vcc, 1
	.set _ZN9rocsparseL31bsrmm_large_blockdim_kernel_extILj8ELj8ELj2EliddddEEvb20rocsparse_direction_T3_S2_llNS_24const_host_device_scalarIT7_EEPKT2_PKS2_PKT4_S2_PKT5_llS5_PT6_ll16rocsparse_order_21rocsparse_index_base_b.uses_flat_scratch, 0
	.set _ZN9rocsparseL31bsrmm_large_blockdim_kernel_extILj8ELj8ELj2EliddddEEvb20rocsparse_direction_T3_S2_llNS_24const_host_device_scalarIT7_EEPKT2_PKS2_PKT4_S2_PKT5_llS5_PT6_ll16rocsparse_order_21rocsparse_index_base_b.has_dyn_sized_stack, 0
	.set _ZN9rocsparseL31bsrmm_large_blockdim_kernel_extILj8ELj8ELj2EliddddEEvb20rocsparse_direction_T3_S2_llNS_24const_host_device_scalarIT7_EEPKT2_PKS2_PKT4_S2_PKT5_llS5_PT6_ll16rocsparse_order_21rocsparse_index_base_b.has_recursion, 0
	.set _ZN9rocsparseL31bsrmm_large_blockdim_kernel_extILj8ELj8ELj2EliddddEEvb20rocsparse_direction_T3_S2_llNS_24const_host_device_scalarIT7_EEPKT2_PKS2_PKT4_S2_PKT5_llS5_PT6_ll16rocsparse_order_21rocsparse_index_base_b.has_indirect_call, 0
	.section	.AMDGPU.csdata,"",@progbits
; Kernel info:
; codeLenInByte = 1760
; TotalNumSgprs: 31
; NumVgprs: 32
; ScratchSize: 0
; MemoryBound: 0
; FloatMode: 240
; IeeeMode: 1
; LDSByteSize: 1536 bytes/workgroup (compile time only)
; SGPRBlocks: 0
; VGPRBlocks: 1
; NumSGPRsForWavesPerEU: 31
; NumVGPRsForWavesPerEU: 32
; NamedBarCnt: 0
; Occupancy: 16
; WaveLimiterHint : 1
; COMPUTE_PGM_RSRC2:SCRATCH_EN: 0
; COMPUTE_PGM_RSRC2:USER_SGPR: 2
; COMPUTE_PGM_RSRC2:TRAP_HANDLER: 0
; COMPUTE_PGM_RSRC2:TGID_X_EN: 1
; COMPUTE_PGM_RSRC2:TGID_Y_EN: 1
; COMPUTE_PGM_RSRC2:TGID_Z_EN: 0
; COMPUTE_PGM_RSRC2:TIDIG_COMP_CNT: 1
	.section	.text._ZN9rocsparseL31bsrmm_large_blockdim_kernel_extILj4ELj16ELj2EliddddEEvb20rocsparse_direction_T3_S2_llNS_24const_host_device_scalarIT7_EEPKT2_PKS2_PKT4_S2_PKT5_llS5_PT6_ll16rocsparse_order_21rocsparse_index_base_b,"axG",@progbits,_ZN9rocsparseL31bsrmm_large_blockdim_kernel_extILj4ELj16ELj2EliddddEEvb20rocsparse_direction_T3_S2_llNS_24const_host_device_scalarIT7_EEPKT2_PKS2_PKT4_S2_PKT5_llS5_PT6_ll16rocsparse_order_21rocsparse_index_base_b,comdat
	.globl	_ZN9rocsparseL31bsrmm_large_blockdim_kernel_extILj4ELj16ELj2EliddddEEvb20rocsparse_direction_T3_S2_llNS_24const_host_device_scalarIT7_EEPKT2_PKS2_PKT4_S2_PKT5_llS5_PT6_ll16rocsparse_order_21rocsparse_index_base_b ; -- Begin function _ZN9rocsparseL31bsrmm_large_blockdim_kernel_extILj4ELj16ELj2EliddddEEvb20rocsparse_direction_T3_S2_llNS_24const_host_device_scalarIT7_EEPKT2_PKS2_PKT4_S2_PKT5_llS5_PT6_ll16rocsparse_order_21rocsparse_index_base_b
	.p2align	8
	.type	_ZN9rocsparseL31bsrmm_large_blockdim_kernel_extILj4ELj16ELj2EliddddEEvb20rocsparse_direction_T3_S2_llNS_24const_host_device_scalarIT7_EEPKT2_PKS2_PKT4_S2_PKT5_llS5_PT6_ll16rocsparse_order_21rocsparse_index_base_b,@function
_ZN9rocsparseL31bsrmm_large_blockdim_kernel_extILj4ELj16ELj2EliddddEEvb20rocsparse_direction_T3_S2_llNS_24const_host_device_scalarIT7_EEPKT2_PKS2_PKT4_S2_PKT5_llS5_PT6_ll16rocsparse_order_21rocsparse_index_base_b: ; @_ZN9rocsparseL31bsrmm_large_blockdim_kernel_extILj4ELj16ELj2EliddddEEvb20rocsparse_direction_T3_S2_llNS_24const_host_device_scalarIT7_EEPKT2_PKS2_PKT4_S2_PKT5_llS5_PT6_ll16rocsparse_order_21rocsparse_index_base_b
; %bb.0:
	s_clause 0x2
	s_load_b96 s[20:22], s[0:1], 0x80
	s_load_b64 s[4:5], s[0:1], 0x20
	s_load_b64 s[2:3], s[0:1], 0x60
	s_wait_kmcnt 0x0
	s_bitcmp1_b32 s22, 0
	v_mov_b64_e32 v[4:5], s[4:5]
	s_cselect_b32 s6, -1, 0
	s_delay_alu instid0(SALU_CYCLE_1)
	s_and_b32 vcc_lo, exec_lo, s6
	s_xor_b32 s6, s6, -1
	s_cbranch_vccnz .LBB17_2
; %bb.1:
	v_mov_b32_e32 v1, 0
	flat_load_b64 v[4:5], v1, s[4:5]
.LBB17_2:
	v_mov_b64_e32 v[6:7], s[2:3]
	s_and_not1_b32 vcc_lo, exec_lo, s6
	s_cbranch_vccnz .LBB17_4
; %bb.3:
	s_wait_xcnt 0x0
	v_mov_b32_e32 v1, 0
	flat_load_b64 v[6:7], v1, s[2:3]
.LBB17_4:
	s_wait_loadcnt_dscnt 0x0
	v_cmp_neq_f64_e32 vcc_lo, 0, v[4:5]
	s_delay_alu instid0(VALU_DEP_2) | instskip(SKIP_2) | instid1(SALU_CYCLE_1)
	v_cmp_neq_f64_e64 s2, 1.0, v[6:7]
	s_mov_b64 s[22:23], 0
	s_or_b32 s2, vcc_lo, s2
	s_and_saveexec_b32 s3, s2
	s_cbranch_execz .LBB17_51
; %bb.5:
	s_clause 0x1
	s_load_b128 s[8:11], s[0:1], 0x0
	s_load_b64 s[2:3], s[0:1], 0x28
	s_bfe_u32 s4, ttmp6, 0x4000c
	s_and_b32 s5, ttmp6, 15
	s_add_co_i32 s4, s4, 1
	s_getreg_b32 s12, hwreg(HW_REG_IB_STS2, 6, 4)
	s_mul_i32 s4, ttmp9, s4
	s_delay_alu instid0(SALU_CYCLE_1)
	s_add_co_i32 s5, s5, s4
	s_cmp_eq_u32 s12, 0
	s_cselect_b32 s6, ttmp9, s5
	s_mov_b32 s5, 0
	s_wait_kmcnt 0x0
	s_cmp_lt_i32 s6, s10
	s_cselect_b32 s28, -1, 0
	s_cmp_ge_i32 s6, s10
	s_cbranch_scc1 .LBB17_7
; %bb.6:
	s_ashr_i32 s7, s6, 31
	s_mov_b32 s4, s21
	s_lshl_b64 s[14:15], s[6:7], 3
	s_delay_alu instid0(SALU_CYCLE_1)
	s_add_nc_u64 s[14:15], s[2:3], s[14:15]
	s_load_b64 s[14:15], s[14:15], 0x0
	s_wait_kmcnt 0x0
	s_sub_nc_u64 s[22:23], s[14:15], s[4:5]
.LBB17_7:
	s_and_not1_b32 vcc_lo, exec_lo, s28
	s_mov_b64 s[24:25], 0
	s_cbranch_vccnz .LBB17_9
; %bb.8:
	s_ashr_i32 s7, s6, 31
	s_delay_alu instid0(SALU_CYCLE_1) | instskip(NEXT) | instid1(SALU_CYCLE_1)
	s_lshl_b64 s[4:5], s[6:7], 3
	s_add_nc_u64 s[2:3], s[2:3], s[4:5]
	s_mov_b32 s5, 0
	s_load_b64 s[2:3], s[2:3], 0x8
	s_mov_b32 s4, s21
	s_wait_kmcnt 0x0
	s_sub_nc_u64 s[24:25], s[2:3], s[4:5]
.LBB17_9:
	s_bfe_u32 s2, ttmp6, 0x40010
	s_load_b32 s7, s[0:1], 0x40
	s_add_co_i32 s2, s2, 1
	s_bfe_u32 s3, ttmp6, 0x40004
	s_mul_i32 s2, ttmp7, s2
	v_bfe_u32 v2, v0, 10, 10
	s_add_co_i32 s3, s3, s2
	s_cmp_eq_u32 s12, 0
	v_and_b32_e32 v22, 0x3ff, v0
	s_cselect_b32 s2, ttmp7, s3
	s_mov_b32 s27, 0
	v_lshl_add_u32 v8, s2, 5, v2
	v_cmp_ge_i64_e64 s2, s[22:23], s[24:25]
	s_delay_alu instid0(VALU_DEP_2)
	v_add_nc_u32_e32 v0, 16, v8
	v_cmp_gt_i32_e64 s3, s11, v8
	s_and_b32 vcc_lo, exec_lo, s2
	s_wait_kmcnt 0x0
	v_cmp_gt_i32_e64 s2, s7, v22
	v_cmp_gt_i32_e64 s4, s11, v0
	s_cbranch_vccnz .LBB17_27
; %bb.10:
	s_clause 0x1
	s_load_b128 s[12:15], s[0:1], 0x30
	s_load_b128 s[16:19], s[0:1], 0x48
	v_mul_lo_u32 v10, s7, v2
	v_dual_mov_b32 v11, 0 :: v_dual_ashrrev_i32 v9, 31, v8
	v_dual_ashrrev_i32 v1, 31, v0 :: v_dual_lshlrev_b32 v18, 3, v2
	v_cmp_gt_i32_e32 vcc_lo, s7, v2
	s_delay_alu instid0(VALU_DEP_3)
	v_dual_mov_b32 v21, v11 :: v_dual_lshlrev_b32 v20, 3, v22
	v_dual_lshlrev_b32 v23, 5, v2 :: v_dual_mov_b32 v19, v11
	s_and_b32 s10, s2, vcc_lo
	s_bitcmp1_b32 s8, 0
	v_add_nc_u32_e32 v28, 0x400, v18
	s_cselect_b32 s5, -1, 0
	s_cmp_eq_u32 s9, 0
	v_add_nc_u32_e32 v26, v20, v23
	s_cselect_b32 vcc_lo, -1, 0
	s_mul_i32 s26, s7, s7
	s_wait_kmcnt 0x0
	v_lshl_add_u64 v[16:17], v[10:11], 3, s[14:15]
	v_mul_u64_e32 v[12:13], s[18:19], v[8:9]
	v_mul_u64_e32 v[14:15], s[18:19], v[0:1]
	v_mul_lo_u32 v10, s7, v22
	s_delay_alu instid0(VALU_DEP_4) | instskip(NEXT) | instid1(VALU_DEP_2)
	v_add_nc_u64_e32 v[16:17], v[16:17], v[20:21]
	v_lshl_add_u64 v[2:3], v[10:11], 3, s[14:15]
	v_mov_b32_e32 v10, v11
	s_delay_alu instid0(VALU_DEP_2) | instskip(SKIP_1) | instid1(VALU_DEP_2)
	v_add_nc_u64_e32 v[2:3], v[2:3], v[18:19]
	v_lshlrev_b32_e32 v27, 5, v22
	v_dual_cndmask_b32 v16, v16, v2 :: v_dual_add_nc_u32 v25, 0x200, v23
	s_delay_alu instid0(VALU_DEP_3) | instskip(NEXT) | instid1(VALU_DEP_3)
	v_cndmask_b32_e32 v17, v17, v3, vcc_lo
	v_add_nc_u32_e32 v24, 0x400, v27
	v_dual_mov_b32 v2, v11 :: v_dual_mov_b32 v3, v11
	v_add_nc_u32_e32 v27, v28, v27
	s_branch .LBB17_13
.LBB17_11:                              ;   in Loop: Header=BB17_13 Depth=1
	s_or_b32 exec_lo, exec_lo, s9
.LBB17_12:                              ;   in Loop: Header=BB17_13 Depth=1
	s_delay_alu instid0(SALU_CYCLE_1) | instskip(SKIP_1) | instid1(SALU_CYCLE_1)
	s_or_b32 exec_lo, exec_lo, s8
	s_add_nc_u64 s[22:23], s[22:23], 1
	v_cmp_ge_i64_e64 s8, s[22:23], s[24:25]
	s_barrier_signal -1
	s_barrier_wait -1
	s_and_b32 vcc_lo, exec_lo, s8
	s_cbranch_vccnz .LBB17_28
.LBB17_13:                              ; =>This Loop Header: Depth=1
                                        ;     Child Loop BB17_23 Depth 2
                                        ;     Child Loop BB17_26 Depth 2
	s_and_saveexec_b32 s8, s2
	s_cbranch_execz .LBB17_18
; %bb.14:                               ;   in Loop: Header=BB17_13 Depth=1
	s_lshl_b64 s[14:15], s[22:23], 2
	s_delay_alu instid0(SALU_CYCLE_1) | instskip(SKIP_3) | instid1(SALU_CYCLE_1)
	s_add_nc_u64 s[14:15], s[12:13], s[14:15]
	s_load_b32 s9, s[14:15], 0x0
	s_wait_kmcnt 0x0
	s_sub_co_i32 s9, s9, s21
	v_mad_u32 v20, s9, s7, v22
	s_delay_alu instid0(VALU_DEP_1) | instskip(NEXT) | instid1(VALU_DEP_1)
	v_ashrrev_i32_e32 v21, 31, v20
	v_mul_u64_e32 v[18:19], s[18:19], v[20:21]
	v_lshl_add_u64 v[20:21], v[20:21], 3, s[16:17]
	s_delay_alu instid0(VALU_DEP_2)
	v_lshl_add_u64 v[18:19], v[18:19], 3, s[16:17]
	s_and_saveexec_b32 s9, s3
	s_cbranch_execz .LBB17_16
; %bb.15:                               ;   in Loop: Header=BB17_13 Depth=1
	s_delay_alu instid0(VALU_DEP_1) | instskip(SKIP_1) | instid1(VALU_DEP_1)
	v_lshl_add_u64 v[28:29], v[8:9], 3, v[18:19]
	v_lshl_add_u64 v[30:31], v[12:13], 3, v[20:21]
	v_dual_cndmask_b32 v29, v29, v31, s5 :: v_dual_cndmask_b32 v28, v28, v30, s5
	global_load_b64 v[28:29], v[28:29], off
	s_wait_loadcnt 0x0
	ds_store_b64 v26, v[28:29]
.LBB17_16:                              ;   in Loop: Header=BB17_13 Depth=1
	s_or_b32 exec_lo, exec_lo, s9
	s_delay_alu instid0(SALU_CYCLE_1)
	s_and_b32 exec_lo, exec_lo, s4
	s_cbranch_execz .LBB17_18
; %bb.17:                               ;   in Loop: Header=BB17_13 Depth=1
	v_lshl_add_u64 v[20:21], v[14:15], 3, v[20:21]
	v_lshl_add_u64 v[18:19], v[0:1], 3, v[18:19]
	s_delay_alu instid0(VALU_DEP_1)
	v_dual_cndmask_b32 v19, v19, v21, s5 :: v_dual_cndmask_b32 v18, v18, v20, s5
	global_load_b64 v[18:19], v[18:19], off
	s_wait_loadcnt 0x0
	ds_store_b64 v26, v[18:19] offset:512
.LBB17_18:                              ;   in Loop: Header=BB17_13 Depth=1
	s_or_b32 exec_lo, exec_lo, s8
	s_and_saveexec_b32 s8, s10
	s_cbranch_execz .LBB17_20
; %bb.19:                               ;   in Loop: Header=BB17_13 Depth=1
	s_mul_u64 s[14:15], s[22:23], s[26:27]
	s_delay_alu instid0(SALU_CYCLE_1)
	v_lshl_add_u64 v[18:19], s[14:15], 3, v[16:17]
	global_load_b64 v[18:19], v[18:19], off
	s_wait_loadcnt 0x0
	ds_store_b64 v27, v[18:19]
.LBB17_20:                              ;   in Loop: Header=BB17_13 Depth=1
	s_or_b32 exec_lo, exec_lo, s8
	s_wait_dscnt 0x0
	s_barrier_signal -1
	s_barrier_wait -1
	s_and_saveexec_b32 s8, s2
	s_cbranch_execz .LBB17_12
; %bb.21:                               ;   in Loop: Header=BB17_13 Depth=1
	s_and_saveexec_b32 s9, s3
	s_cbranch_execz .LBB17_24
; %bb.22:                               ;   in Loop: Header=BB17_13 Depth=1
	v_dual_mov_b32 v18, v24 :: v_dual_mov_b32 v19, v23
	s_mov_b32 s14, s7
.LBB17_23:                              ;   Parent Loop BB17_13 Depth=1
                                        ; =>  This Inner Loop Header: Depth=2
	ds_load_b64 v[20:21], v18
	ds_load_b64 v[28:29], v19
	v_dual_add_nc_u32 v19, 8, v19 :: v_dual_add_nc_u32 v18, 8, v18
	s_add_co_i32 s14, s14, -1
	s_delay_alu instid0(SALU_CYCLE_1)
	s_cmp_lg_u32 s14, 0
	s_wait_dscnt 0x0
	v_fmac_f64_e32 v[10:11], v[20:21], v[28:29]
	s_cbranch_scc1 .LBB17_23
.LBB17_24:                              ;   in Loop: Header=BB17_13 Depth=1
	s_or_b32 exec_lo, exec_lo, s9
	s_and_saveexec_b32 s9, s4
	s_cbranch_execz .LBB17_11
; %bb.25:                               ;   in Loop: Header=BB17_13 Depth=1
	v_dual_mov_b32 v18, v24 :: v_dual_mov_b32 v19, v25
	s_mov_b32 s14, s7
.LBB17_26:                              ;   Parent Loop BB17_13 Depth=1
                                        ; =>  This Inner Loop Header: Depth=2
	ds_load_b64 v[20:21], v18
	ds_load_b64 v[28:29], v19
	v_dual_add_nc_u32 v19, 8, v19 :: v_dual_add_nc_u32 v18, 8, v18
	s_add_co_i32 s14, s14, -1
	s_delay_alu instid0(SALU_CYCLE_1)
	s_cmp_lg_u32 s14, 0
	s_wait_dscnt 0x0
	v_fmac_f64_e32 v[2:3], v[20:21], v[28:29]
	s_cbranch_scc1 .LBB17_26
	s_branch .LBB17_11
.LBB17_27:
	v_mov_b32_e32 v10, 0
	s_delay_alu instid0(VALU_DEP_1)
	v_dual_mov_b32 v11, v10 :: v_dual_mov_b32 v2, v10
	v_mov_b32_e32 v3, v10
.LBB17_28:
	s_load_b64 s[4:5], s[0:1], 0x68
	s_and_b32 s2, s28, s2
	s_delay_alu instid0(SALU_CYCLE_1)
	s_and_b32 exec_lo, exec_lo, s2
	s_cbranch_execz .LBB17_51
; %bb.29:
	s_load_b64 s[2:3], s[0:1], 0x70
	v_mad_u32 v12, s7, s6, v22
	s_wait_xcnt 0x0
	v_cmp_neq_f64_e64 s0, 0, v[6:7]
	s_cmp_lg_u32 s20, 1
	s_cselect_b32 s1, -1, 0
	v_ashrrev_i32_e32 v13, 31, v12
	s_wait_kmcnt 0x0
	s_delay_alu instid0(VALU_DEP_1) | instskip(SKIP_1) | instid1(VALU_DEP_2)
	v_mul_u64_e32 v[14:15], s[2:3], v[12:13]
	v_lshl_add_u64 v[12:13], v[12:13], 3, s[4:5]
	v_lshl_add_u64 v[14:15], v[14:15], 3, s[4:5]
	s_mov_b32 s4, exec_lo
	v_cmpx_gt_i32_e64 s11, v8
	s_cbranch_execz .LBB17_40
; %bb.30:
	v_ashrrev_i32_e32 v9, 31, v8
	s_and_saveexec_b32 s5, s0
	s_delay_alu instid0(SALU_CYCLE_1)
	s_xor_b32 s5, exec_lo, s5
	s_cbranch_execz .LBB17_35
; %bb.31:
	s_and_b32 vcc_lo, exec_lo, s1
	s_mov_b32 s6, -1
	s_cbranch_vccz .LBB17_33
; %bb.32:
	v_lshl_add_u64 v[16:17], v[8:9], 3, v[14:15]
	v_mul_f64_e32 v[20:21], v[4:5], v[10:11]
	s_mov_b32 s6, 0
	global_load_b64 v[18:19], v[16:17], off
	s_wait_loadcnt 0x0
	v_fmac_f64_e32 v[20:21], v[6:7], v[18:19]
	global_store_b64 v[16:17], v[20:21], off
.LBB17_33:
	s_and_not1_b32 vcc_lo, exec_lo, s6
	s_cbranch_vccnz .LBB17_35
; %bb.34:
	v_mul_u64_e32 v[8:9], s[2:3], v[8:9]
	v_mul_f64_e32 v[18:19], v[4:5], v[10:11]
	s_delay_alu instid0(VALU_DEP_2)
	v_lshl_add_u64 v[8:9], v[8:9], 3, v[12:13]
	global_load_b64 v[16:17], v[8:9], off
	s_wait_loadcnt 0x0
	v_fmac_f64_e32 v[18:19], v[6:7], v[16:17]
	global_store_b64 v[8:9], v[18:19], off
                                        ; implicit-def: $vgpr8
.LBB17_35:
	s_wait_xcnt 0x0
	s_and_not1_saveexec_b32 s5, s5
	s_cbranch_execz .LBB17_40
; %bb.36:
	v_mul_f64_e32 v[10:11], v[4:5], v[10:11]
	s_and_b32 vcc_lo, exec_lo, s1
	s_mov_b32 s5, -1
	s_cbranch_vccz .LBB17_38
; %bb.37:
	v_lshl_add_u64 v[16:17], v[8:9], 3, v[14:15]
	s_mov_b32 s5, 0
	global_store_b64 v[16:17], v[10:11], off
.LBB17_38:
	s_and_not1_b32 vcc_lo, exec_lo, s5
	s_cbranch_vccnz .LBB17_40
; %bb.39:
	v_mul_u64_e32 v[8:9], s[2:3], v[8:9]
	s_delay_alu instid0(VALU_DEP_1)
	v_lshl_add_u64 v[8:9], v[8:9], 3, v[12:13]
	global_store_b64 v[8:9], v[10:11], off
.LBB17_40:
	s_wait_xcnt 0x0
	s_or_b32 exec_lo, exec_lo, s4
	v_cmp_gt_i32_e32 vcc_lo, s11, v0
	s_and_b32 exec_lo, exec_lo, vcc_lo
	s_cbranch_execz .LBB17_51
; %bb.41:
	v_ashrrev_i32_e32 v1, 31, v0
	v_cndmask_b32_e64 v8, 0, 1, s1
	s_and_saveexec_b32 s1, s0
	s_delay_alu instid0(SALU_CYCLE_1)
	s_xor_b32 s0, exec_lo, s1
	s_cbranch_execz .LBB17_46
; %bb.42:
	s_delay_alu instid0(VALU_DEP_1)
	v_cmp_ne_u32_e32 vcc_lo, 1, v8
	s_mov_b32 s1, -1
	s_cbranch_vccnz .LBB17_44
; %bb.43:
	v_lshl_add_u64 v[8:9], v[0:1], 3, v[14:15]
	v_mul_f64_e32 v[14:15], v[4:5], v[2:3]
	s_mov_b32 s1, 0
	global_load_b64 v[10:11], v[8:9], off
	s_wait_loadcnt 0x0
	v_fmac_f64_e32 v[14:15], v[6:7], v[10:11]
	global_store_b64 v[8:9], v[14:15], off
.LBB17_44:
	s_and_not1_b32 vcc_lo, exec_lo, s1
                                        ; implicit-def: $vgpr8
                                        ; implicit-def: $vgpr14_vgpr15
	s_cbranch_vccnz .LBB17_46
; %bb.45:
	v_mul_u64_e32 v[0:1], s[2:3], v[0:1]
	v_mul_f64_e32 v[2:3], v[4:5], v[2:3]
                                        ; implicit-def: $vgpr4_vgpr5
                                        ; implicit-def: $vgpr14_vgpr15
	s_delay_alu instid0(VALU_DEP_2)
	v_lshl_add_u64 v[0:1], v[0:1], 3, v[12:13]
                                        ; implicit-def: $vgpr12_vgpr13
	global_load_b64 v[8:9], v[0:1], off
	s_wait_loadcnt 0x0
	v_fmac_f64_e32 v[2:3], v[6:7], v[8:9]
                                        ; implicit-def: $vgpr8
	global_store_b64 v[0:1], v[2:3], off
                                        ; implicit-def: $vgpr0_vgpr1_vgpr2_vgpr3
                                        ; implicit-def: $vgpr0
.LBB17_46:
	s_wait_xcnt 0x0
	s_and_not1_saveexec_b32 s0, s0
	s_cbranch_execz .LBB17_51
; %bb.47:
	v_mul_f64_e32 v[2:3], v[4:5], v[2:3]
	v_cmp_ne_u32_e32 vcc_lo, 1, v8
	s_mov_b32 s0, -1
	s_cbranch_vccnz .LBB17_49
; %bb.48:
	v_lshl_add_u64 v[4:5], v[0:1], 3, v[14:15]
	s_mov_b32 s0, 0
	global_store_b64 v[4:5], v[2:3], off
.LBB17_49:
	s_and_not1_b32 vcc_lo, exec_lo, s0
	s_cbranch_vccnz .LBB17_51
; %bb.50:
	v_mul_u64_e32 v[0:1], s[2:3], v[0:1]
	s_delay_alu instid0(VALU_DEP_1)
	v_lshl_add_u64 v[0:1], v[0:1], 3, v[12:13]
	global_store_b64 v[0:1], v[2:3], off
.LBB17_51:
	s_endpgm
	.section	.rodata,"a",@progbits
	.p2align	6, 0x0
	.amdhsa_kernel _ZN9rocsparseL31bsrmm_large_blockdim_kernel_extILj4ELj16ELj2EliddddEEvb20rocsparse_direction_T3_S2_llNS_24const_host_device_scalarIT7_EEPKT2_PKS2_PKT4_S2_PKT5_llS5_PT6_ll16rocsparse_order_21rocsparse_index_base_b
		.amdhsa_group_segment_fixed_size 1152
		.amdhsa_private_segment_fixed_size 0
		.amdhsa_kernarg_size 140
		.amdhsa_user_sgpr_count 2
		.amdhsa_user_sgpr_dispatch_ptr 0
		.amdhsa_user_sgpr_queue_ptr 0
		.amdhsa_user_sgpr_kernarg_segment_ptr 1
		.amdhsa_user_sgpr_dispatch_id 0
		.amdhsa_user_sgpr_kernarg_preload_length 0
		.amdhsa_user_sgpr_kernarg_preload_offset 0
		.amdhsa_user_sgpr_private_segment_size 0
		.amdhsa_wavefront_size32 1
		.amdhsa_uses_dynamic_stack 0
		.amdhsa_enable_private_segment 0
		.amdhsa_system_sgpr_workgroup_id_x 1
		.amdhsa_system_sgpr_workgroup_id_y 1
		.amdhsa_system_sgpr_workgroup_id_z 0
		.amdhsa_system_sgpr_workgroup_info 0
		.amdhsa_system_vgpr_workitem_id 1
		.amdhsa_next_free_vgpr 32
		.amdhsa_next_free_sgpr 29
		.amdhsa_named_barrier_count 0
		.amdhsa_reserve_vcc 1
		.amdhsa_float_round_mode_32 0
		.amdhsa_float_round_mode_16_64 0
		.amdhsa_float_denorm_mode_32 3
		.amdhsa_float_denorm_mode_16_64 3
		.amdhsa_fp16_overflow 0
		.amdhsa_memory_ordered 1
		.amdhsa_forward_progress 1
		.amdhsa_inst_pref_size 14
		.amdhsa_round_robin_scheduling 0
		.amdhsa_exception_fp_ieee_invalid_op 0
		.amdhsa_exception_fp_denorm_src 0
		.amdhsa_exception_fp_ieee_div_zero 0
		.amdhsa_exception_fp_ieee_overflow 0
		.amdhsa_exception_fp_ieee_underflow 0
		.amdhsa_exception_fp_ieee_inexact 0
		.amdhsa_exception_int_div_zero 0
	.end_amdhsa_kernel
	.section	.text._ZN9rocsparseL31bsrmm_large_blockdim_kernel_extILj4ELj16ELj2EliddddEEvb20rocsparse_direction_T3_S2_llNS_24const_host_device_scalarIT7_EEPKT2_PKS2_PKT4_S2_PKT5_llS5_PT6_ll16rocsparse_order_21rocsparse_index_base_b,"axG",@progbits,_ZN9rocsparseL31bsrmm_large_blockdim_kernel_extILj4ELj16ELj2EliddddEEvb20rocsparse_direction_T3_S2_llNS_24const_host_device_scalarIT7_EEPKT2_PKS2_PKT4_S2_PKT5_llS5_PT6_ll16rocsparse_order_21rocsparse_index_base_b,comdat
.Lfunc_end17:
	.size	_ZN9rocsparseL31bsrmm_large_blockdim_kernel_extILj4ELj16ELj2EliddddEEvb20rocsparse_direction_T3_S2_llNS_24const_host_device_scalarIT7_EEPKT2_PKS2_PKT4_S2_PKT5_llS5_PT6_ll16rocsparse_order_21rocsparse_index_base_b, .Lfunc_end17-_ZN9rocsparseL31bsrmm_large_blockdim_kernel_extILj4ELj16ELj2EliddddEEvb20rocsparse_direction_T3_S2_llNS_24const_host_device_scalarIT7_EEPKT2_PKS2_PKT4_S2_PKT5_llS5_PT6_ll16rocsparse_order_21rocsparse_index_base_b
                                        ; -- End function
	.set _ZN9rocsparseL31bsrmm_large_blockdim_kernel_extILj4ELj16ELj2EliddddEEvb20rocsparse_direction_T3_S2_llNS_24const_host_device_scalarIT7_EEPKT2_PKS2_PKT4_S2_PKT5_llS5_PT6_ll16rocsparse_order_21rocsparse_index_base_b.num_vgpr, 32
	.set _ZN9rocsparseL31bsrmm_large_blockdim_kernel_extILj4ELj16ELj2EliddddEEvb20rocsparse_direction_T3_S2_llNS_24const_host_device_scalarIT7_EEPKT2_PKS2_PKT4_S2_PKT5_llS5_PT6_ll16rocsparse_order_21rocsparse_index_base_b.num_agpr, 0
	.set _ZN9rocsparseL31bsrmm_large_blockdim_kernel_extILj4ELj16ELj2EliddddEEvb20rocsparse_direction_T3_S2_llNS_24const_host_device_scalarIT7_EEPKT2_PKS2_PKT4_S2_PKT5_llS5_PT6_ll16rocsparse_order_21rocsparse_index_base_b.numbered_sgpr, 29
	.set _ZN9rocsparseL31bsrmm_large_blockdim_kernel_extILj4ELj16ELj2EliddddEEvb20rocsparse_direction_T3_S2_llNS_24const_host_device_scalarIT7_EEPKT2_PKS2_PKT4_S2_PKT5_llS5_PT6_ll16rocsparse_order_21rocsparse_index_base_b.num_named_barrier, 0
	.set _ZN9rocsparseL31bsrmm_large_blockdim_kernel_extILj4ELj16ELj2EliddddEEvb20rocsparse_direction_T3_S2_llNS_24const_host_device_scalarIT7_EEPKT2_PKS2_PKT4_S2_PKT5_llS5_PT6_ll16rocsparse_order_21rocsparse_index_base_b.private_seg_size, 0
	.set _ZN9rocsparseL31bsrmm_large_blockdim_kernel_extILj4ELj16ELj2EliddddEEvb20rocsparse_direction_T3_S2_llNS_24const_host_device_scalarIT7_EEPKT2_PKS2_PKT4_S2_PKT5_llS5_PT6_ll16rocsparse_order_21rocsparse_index_base_b.uses_vcc, 1
	.set _ZN9rocsparseL31bsrmm_large_blockdim_kernel_extILj4ELj16ELj2EliddddEEvb20rocsparse_direction_T3_S2_llNS_24const_host_device_scalarIT7_EEPKT2_PKS2_PKT4_S2_PKT5_llS5_PT6_ll16rocsparse_order_21rocsparse_index_base_b.uses_flat_scratch, 0
	.set _ZN9rocsparseL31bsrmm_large_blockdim_kernel_extILj4ELj16ELj2EliddddEEvb20rocsparse_direction_T3_S2_llNS_24const_host_device_scalarIT7_EEPKT2_PKS2_PKT4_S2_PKT5_llS5_PT6_ll16rocsparse_order_21rocsparse_index_base_b.has_dyn_sized_stack, 0
	.set _ZN9rocsparseL31bsrmm_large_blockdim_kernel_extILj4ELj16ELj2EliddddEEvb20rocsparse_direction_T3_S2_llNS_24const_host_device_scalarIT7_EEPKT2_PKS2_PKT4_S2_PKT5_llS5_PT6_ll16rocsparse_order_21rocsparse_index_base_b.has_recursion, 0
	.set _ZN9rocsparseL31bsrmm_large_blockdim_kernel_extILj4ELj16ELj2EliddddEEvb20rocsparse_direction_T3_S2_llNS_24const_host_device_scalarIT7_EEPKT2_PKS2_PKT4_S2_PKT5_llS5_PT6_ll16rocsparse_order_21rocsparse_index_base_b.has_indirect_call, 0
	.section	.AMDGPU.csdata,"",@progbits
; Kernel info:
; codeLenInByte = 1760
; TotalNumSgprs: 31
; NumVgprs: 32
; ScratchSize: 0
; MemoryBound: 0
; FloatMode: 240
; IeeeMode: 1
; LDSByteSize: 1152 bytes/workgroup (compile time only)
; SGPRBlocks: 0
; VGPRBlocks: 1
; NumSGPRsForWavesPerEU: 31
; NumVGPRsForWavesPerEU: 32
; NamedBarCnt: 0
; Occupancy: 16
; WaveLimiterHint : 1
; COMPUTE_PGM_RSRC2:SCRATCH_EN: 0
; COMPUTE_PGM_RSRC2:USER_SGPR: 2
; COMPUTE_PGM_RSRC2:TRAP_HANDLER: 0
; COMPUTE_PGM_RSRC2:TGID_X_EN: 1
; COMPUTE_PGM_RSRC2:TGID_Y_EN: 1
; COMPUTE_PGM_RSRC2:TGID_Z_EN: 0
; COMPUTE_PGM_RSRC2:TIDIG_COMP_CNT: 1
	.section	.text._ZN9rocsparseL31bsrmm_large_blockdim_kernel_extILj16ELj16ELj2EliddddEEvb20rocsparse_direction_T3_S2_llNS_24const_host_device_scalarIT7_EEPKT2_PKS2_PKT4_S2_PKT5_llS5_PT6_ll16rocsparse_order_21rocsparse_index_base_b,"axG",@progbits,_ZN9rocsparseL31bsrmm_large_blockdim_kernel_extILj16ELj16ELj2EliddddEEvb20rocsparse_direction_T3_S2_llNS_24const_host_device_scalarIT7_EEPKT2_PKS2_PKT4_S2_PKT5_llS5_PT6_ll16rocsparse_order_21rocsparse_index_base_b,comdat
	.globl	_ZN9rocsparseL31bsrmm_large_blockdim_kernel_extILj16ELj16ELj2EliddddEEvb20rocsparse_direction_T3_S2_llNS_24const_host_device_scalarIT7_EEPKT2_PKS2_PKT4_S2_PKT5_llS5_PT6_ll16rocsparse_order_21rocsparse_index_base_b ; -- Begin function _ZN9rocsparseL31bsrmm_large_blockdim_kernel_extILj16ELj16ELj2EliddddEEvb20rocsparse_direction_T3_S2_llNS_24const_host_device_scalarIT7_EEPKT2_PKS2_PKT4_S2_PKT5_llS5_PT6_ll16rocsparse_order_21rocsparse_index_base_b
	.p2align	8
	.type	_ZN9rocsparseL31bsrmm_large_blockdim_kernel_extILj16ELj16ELj2EliddddEEvb20rocsparse_direction_T3_S2_llNS_24const_host_device_scalarIT7_EEPKT2_PKS2_PKT4_S2_PKT5_llS5_PT6_ll16rocsparse_order_21rocsparse_index_base_b,@function
_ZN9rocsparseL31bsrmm_large_blockdim_kernel_extILj16ELj16ELj2EliddddEEvb20rocsparse_direction_T3_S2_llNS_24const_host_device_scalarIT7_EEPKT2_PKS2_PKT4_S2_PKT5_llS5_PT6_ll16rocsparse_order_21rocsparse_index_base_b: ; @_ZN9rocsparseL31bsrmm_large_blockdim_kernel_extILj16ELj16ELj2EliddddEEvb20rocsparse_direction_T3_S2_llNS_24const_host_device_scalarIT7_EEPKT2_PKS2_PKT4_S2_PKT5_llS5_PT6_ll16rocsparse_order_21rocsparse_index_base_b
; %bb.0:
	s_clause 0x2
	s_load_b96 s[20:22], s[0:1], 0x80
	s_load_b64 s[4:5], s[0:1], 0x20
	s_load_b64 s[2:3], s[0:1], 0x60
	s_wait_kmcnt 0x0
	s_bitcmp1_b32 s22, 0
	v_mov_b64_e32 v[4:5], s[4:5]
	s_cselect_b32 s6, -1, 0
	s_delay_alu instid0(SALU_CYCLE_1)
	s_and_b32 vcc_lo, exec_lo, s6
	s_xor_b32 s6, s6, -1
	s_cbranch_vccnz .LBB18_2
; %bb.1:
	v_mov_b32_e32 v1, 0
	flat_load_b64 v[4:5], v1, s[4:5]
.LBB18_2:
	v_mov_b64_e32 v[6:7], s[2:3]
	s_and_not1_b32 vcc_lo, exec_lo, s6
	s_cbranch_vccnz .LBB18_4
; %bb.3:
	s_wait_xcnt 0x0
	v_mov_b32_e32 v1, 0
	flat_load_b64 v[6:7], v1, s[2:3]
.LBB18_4:
	s_wait_loadcnt_dscnt 0x0
	v_cmp_neq_f64_e32 vcc_lo, 0, v[4:5]
	s_delay_alu instid0(VALU_DEP_2) | instskip(SKIP_2) | instid1(SALU_CYCLE_1)
	v_cmp_neq_f64_e64 s2, 1.0, v[6:7]
	s_mov_b64 s[22:23], 0
	s_or_b32 s2, vcc_lo, s2
	s_and_saveexec_b32 s3, s2
	s_cbranch_execz .LBB18_51
; %bb.5:
	s_clause 0x1
	s_load_b128 s[8:11], s[0:1], 0x0
	s_load_b64 s[2:3], s[0:1], 0x28
	s_bfe_u32 s4, ttmp6, 0x4000c
	s_and_b32 s5, ttmp6, 15
	s_add_co_i32 s4, s4, 1
	s_getreg_b32 s12, hwreg(HW_REG_IB_STS2, 6, 4)
	s_mul_i32 s4, ttmp9, s4
	s_delay_alu instid0(SALU_CYCLE_1)
	s_add_co_i32 s5, s5, s4
	s_cmp_eq_u32 s12, 0
	s_cselect_b32 s6, ttmp9, s5
	s_mov_b32 s5, 0
	s_wait_kmcnt 0x0
	s_cmp_lt_i32 s6, s10
	s_cselect_b32 s28, -1, 0
	s_cmp_ge_i32 s6, s10
	s_cbranch_scc1 .LBB18_7
; %bb.6:
	s_ashr_i32 s7, s6, 31
	s_mov_b32 s4, s21
	s_lshl_b64 s[14:15], s[6:7], 3
	s_delay_alu instid0(SALU_CYCLE_1)
	s_add_nc_u64 s[14:15], s[2:3], s[14:15]
	s_load_b64 s[14:15], s[14:15], 0x0
	s_wait_kmcnt 0x0
	s_sub_nc_u64 s[22:23], s[14:15], s[4:5]
.LBB18_7:
	s_and_not1_b32 vcc_lo, exec_lo, s28
	s_mov_b64 s[24:25], 0
	s_cbranch_vccnz .LBB18_9
; %bb.8:
	s_ashr_i32 s7, s6, 31
	s_delay_alu instid0(SALU_CYCLE_1) | instskip(NEXT) | instid1(SALU_CYCLE_1)
	s_lshl_b64 s[4:5], s[6:7], 3
	s_add_nc_u64 s[2:3], s[2:3], s[4:5]
	s_mov_b32 s5, 0
	s_load_b64 s[2:3], s[2:3], 0x8
	s_mov_b32 s4, s21
	s_wait_kmcnt 0x0
	s_sub_nc_u64 s[24:25], s[2:3], s[4:5]
.LBB18_9:
	s_bfe_u32 s2, ttmp6, 0x40010
	s_load_b32 s7, s[0:1], 0x40
	s_add_co_i32 s2, s2, 1
	s_bfe_u32 s3, ttmp6, 0x40004
	s_mul_i32 s2, ttmp7, s2
	v_bfe_u32 v2, v0, 10, 10
	s_add_co_i32 s3, s3, s2
	s_cmp_eq_u32 s12, 0
	v_and_b32_e32 v22, 0x3ff, v0
	s_cselect_b32 s2, ttmp7, s3
	s_mov_b32 s27, 0
	v_lshl_add_u32 v8, s2, 5, v2
	v_cmp_ge_i64_e64 s2, s[22:23], s[24:25]
	s_delay_alu instid0(VALU_DEP_2)
	v_add_nc_u32_e32 v0, 16, v8
	v_cmp_gt_i32_e64 s3, s11, v8
	s_and_b32 vcc_lo, exec_lo, s2
	s_wait_kmcnt 0x0
	v_cmp_gt_i32_e64 s2, s7, v22
	v_cmp_gt_i32_e64 s4, s11, v0
	s_cbranch_vccnz .LBB18_27
; %bb.10:
	s_clause 0x1
	s_load_b128 s[12:15], s[0:1], 0x30
	s_load_b128 s[16:19], s[0:1], 0x48
	v_mul_lo_u32 v10, s7, v2
	v_dual_mov_b32 v11, 0 :: v_dual_ashrrev_i32 v9, 31, v8
	v_dual_ashrrev_i32 v1, 31, v0 :: v_dual_lshlrev_b32 v18, 3, v2
	v_cmp_gt_i32_e32 vcc_lo, s7, v2
	s_delay_alu instid0(VALU_DEP_3)
	v_dual_mov_b32 v21, v11 :: v_dual_lshlrev_b32 v20, 3, v22
	v_dual_lshlrev_b32 v23, 7, v2 :: v_dual_mov_b32 v19, v11
	s_and_b32 s10, s2, vcc_lo
	s_bitcmp1_b32 s8, 0
	v_add_nc_u32_e32 v27, 0x1000, v18
	s_cselect_b32 s5, -1, 0
	s_cmp_eq_u32 s9, 0
	s_mul_i32 s26, s7, s7
	s_cselect_b32 vcc_lo, -1, 0
	s_wait_kmcnt 0x0
	v_lshl_add_u64 v[16:17], v[10:11], 3, s[14:15]
	v_mul_u64_e32 v[12:13], s[18:19], v[8:9]
	v_mul_u64_e32 v[14:15], s[18:19], v[0:1]
	v_mul_lo_u32 v10, s7, v22
	s_delay_alu instid0(VALU_DEP_4) | instskip(NEXT) | instid1(VALU_DEP_2)
	v_add_nc_u64_e32 v[16:17], v[16:17], v[20:21]
	v_lshl_add_u64 v[2:3], v[10:11], 3, s[14:15]
	v_mov_b32_e32 v10, v11
	s_delay_alu instid0(VALU_DEP_2) | instskip(SKIP_1) | instid1(VALU_DEP_2)
	v_add_nc_u64_e32 v[2:3], v[2:3], v[18:19]
	v_lshlrev_b32_e32 v26, 7, v22
	v_dual_cndmask_b32 v16, v16, v2 :: v_dual_add_nc_u32 v25, 0x800, v23
	s_delay_alu instid0(VALU_DEP_2)
	v_dual_cndmask_b32 v17, v17, v3 :: v_dual_add_nc_u32 v24, 0x1000, v26
	v_dual_mov_b32 v3, v11 :: v_dual_mov_b32 v2, v11
	v_dual_add_nc_u32 v26, v27, v26 :: v_dual_add_nc_u32 v27, v20, v23
	s_branch .LBB18_13
.LBB18_11:                              ;   in Loop: Header=BB18_13 Depth=1
	s_or_b32 exec_lo, exec_lo, s9
.LBB18_12:                              ;   in Loop: Header=BB18_13 Depth=1
	s_delay_alu instid0(SALU_CYCLE_1) | instskip(SKIP_1) | instid1(SALU_CYCLE_1)
	s_or_b32 exec_lo, exec_lo, s8
	s_add_nc_u64 s[22:23], s[22:23], 1
	v_cmp_ge_i64_e64 s8, s[22:23], s[24:25]
	s_barrier_signal -1
	s_barrier_wait -1
	s_and_b32 vcc_lo, exec_lo, s8
	s_cbranch_vccnz .LBB18_28
.LBB18_13:                              ; =>This Loop Header: Depth=1
                                        ;     Child Loop BB18_23 Depth 2
                                        ;     Child Loop BB18_26 Depth 2
	s_and_saveexec_b32 s8, s2
	s_cbranch_execz .LBB18_18
; %bb.14:                               ;   in Loop: Header=BB18_13 Depth=1
	s_lshl_b64 s[14:15], s[22:23], 2
	s_delay_alu instid0(SALU_CYCLE_1) | instskip(SKIP_3) | instid1(SALU_CYCLE_1)
	s_add_nc_u64 s[14:15], s[12:13], s[14:15]
	s_load_b32 s9, s[14:15], 0x0
	s_wait_kmcnt 0x0
	s_sub_co_i32 s9, s9, s21
	v_mad_u32 v20, s9, s7, v22
	s_delay_alu instid0(VALU_DEP_1) | instskip(NEXT) | instid1(VALU_DEP_1)
	v_ashrrev_i32_e32 v21, 31, v20
	v_mul_u64_e32 v[18:19], s[18:19], v[20:21]
	v_lshl_add_u64 v[20:21], v[20:21], 3, s[16:17]
	s_delay_alu instid0(VALU_DEP_2)
	v_lshl_add_u64 v[18:19], v[18:19], 3, s[16:17]
	s_and_saveexec_b32 s9, s3
	s_cbranch_execz .LBB18_16
; %bb.15:                               ;   in Loop: Header=BB18_13 Depth=1
	s_delay_alu instid0(VALU_DEP_1) | instskip(SKIP_1) | instid1(VALU_DEP_1)
	v_lshl_add_u64 v[28:29], v[8:9], 3, v[18:19]
	v_lshl_add_u64 v[30:31], v[12:13], 3, v[20:21]
	v_dual_cndmask_b32 v29, v29, v31, s5 :: v_dual_cndmask_b32 v28, v28, v30, s5
	global_load_b64 v[28:29], v[28:29], off
	s_wait_loadcnt 0x0
	ds_store_b64 v27, v[28:29]
.LBB18_16:                              ;   in Loop: Header=BB18_13 Depth=1
	s_or_b32 exec_lo, exec_lo, s9
	s_delay_alu instid0(SALU_CYCLE_1)
	s_and_b32 exec_lo, exec_lo, s4
	s_cbranch_execz .LBB18_18
; %bb.17:                               ;   in Loop: Header=BB18_13 Depth=1
	v_lshl_add_u64 v[20:21], v[14:15], 3, v[20:21]
	v_lshl_add_u64 v[18:19], v[0:1], 3, v[18:19]
	s_delay_alu instid0(VALU_DEP_1)
	v_dual_cndmask_b32 v19, v19, v21, s5 :: v_dual_cndmask_b32 v18, v18, v20, s5
	global_load_b64 v[18:19], v[18:19], off
	s_wait_loadcnt 0x0
	ds_store_b64 v27, v[18:19] offset:2048
.LBB18_18:                              ;   in Loop: Header=BB18_13 Depth=1
	s_or_b32 exec_lo, exec_lo, s8
	s_and_saveexec_b32 s8, s10
	s_cbranch_execz .LBB18_20
; %bb.19:                               ;   in Loop: Header=BB18_13 Depth=1
	s_mul_u64 s[14:15], s[22:23], s[26:27]
	s_delay_alu instid0(SALU_CYCLE_1)
	v_lshl_add_u64 v[18:19], s[14:15], 3, v[16:17]
	global_load_b64 v[18:19], v[18:19], off
	s_wait_loadcnt 0x0
	ds_store_b64 v26, v[18:19]
.LBB18_20:                              ;   in Loop: Header=BB18_13 Depth=1
	s_or_b32 exec_lo, exec_lo, s8
	s_wait_dscnt 0x0
	s_barrier_signal -1
	s_barrier_wait -1
	s_and_saveexec_b32 s8, s2
	s_cbranch_execz .LBB18_12
; %bb.21:                               ;   in Loop: Header=BB18_13 Depth=1
	s_and_saveexec_b32 s9, s3
	s_cbranch_execz .LBB18_24
; %bb.22:                               ;   in Loop: Header=BB18_13 Depth=1
	v_dual_mov_b32 v18, v24 :: v_dual_mov_b32 v19, v23
	s_mov_b32 s14, s7
.LBB18_23:                              ;   Parent Loop BB18_13 Depth=1
                                        ; =>  This Inner Loop Header: Depth=2
	ds_load_b64 v[20:21], v18
	ds_load_b64 v[28:29], v19
	v_dual_add_nc_u32 v19, 8, v19 :: v_dual_add_nc_u32 v18, 8, v18
	s_add_co_i32 s14, s14, -1
	s_delay_alu instid0(SALU_CYCLE_1)
	s_cmp_lg_u32 s14, 0
	s_wait_dscnt 0x0
	v_fmac_f64_e32 v[10:11], v[20:21], v[28:29]
	s_cbranch_scc1 .LBB18_23
.LBB18_24:                              ;   in Loop: Header=BB18_13 Depth=1
	s_or_b32 exec_lo, exec_lo, s9
	s_and_saveexec_b32 s9, s4
	s_cbranch_execz .LBB18_11
; %bb.25:                               ;   in Loop: Header=BB18_13 Depth=1
	v_dual_mov_b32 v18, v24 :: v_dual_mov_b32 v19, v25
	s_mov_b32 s14, s7
.LBB18_26:                              ;   Parent Loop BB18_13 Depth=1
                                        ; =>  This Inner Loop Header: Depth=2
	ds_load_b64 v[20:21], v18
	ds_load_b64 v[28:29], v19
	v_dual_add_nc_u32 v19, 8, v19 :: v_dual_add_nc_u32 v18, 8, v18
	s_add_co_i32 s14, s14, -1
	s_delay_alu instid0(SALU_CYCLE_1)
	s_cmp_lg_u32 s14, 0
	s_wait_dscnt 0x0
	v_fmac_f64_e32 v[2:3], v[20:21], v[28:29]
	s_cbranch_scc1 .LBB18_26
	s_branch .LBB18_11
.LBB18_27:
	v_mov_b32_e32 v10, 0
	s_delay_alu instid0(VALU_DEP_1)
	v_dual_mov_b32 v11, v10 :: v_dual_mov_b32 v2, v10
	v_mov_b32_e32 v3, v10
.LBB18_28:
	s_load_b64 s[4:5], s[0:1], 0x68
	s_and_b32 s2, s28, s2
	s_delay_alu instid0(SALU_CYCLE_1)
	s_and_b32 exec_lo, exec_lo, s2
	s_cbranch_execz .LBB18_51
; %bb.29:
	s_load_b64 s[2:3], s[0:1], 0x70
	v_mad_u32 v12, s7, s6, v22
	s_wait_xcnt 0x0
	v_cmp_neq_f64_e64 s0, 0, v[6:7]
	s_cmp_lg_u32 s20, 1
	s_cselect_b32 s1, -1, 0
	v_ashrrev_i32_e32 v13, 31, v12
	s_wait_kmcnt 0x0
	s_delay_alu instid0(VALU_DEP_1) | instskip(SKIP_1) | instid1(VALU_DEP_2)
	v_mul_u64_e32 v[14:15], s[2:3], v[12:13]
	v_lshl_add_u64 v[12:13], v[12:13], 3, s[4:5]
	v_lshl_add_u64 v[14:15], v[14:15], 3, s[4:5]
	s_mov_b32 s4, exec_lo
	v_cmpx_gt_i32_e64 s11, v8
	s_cbranch_execz .LBB18_40
; %bb.30:
	v_ashrrev_i32_e32 v9, 31, v8
	s_and_saveexec_b32 s5, s0
	s_delay_alu instid0(SALU_CYCLE_1)
	s_xor_b32 s5, exec_lo, s5
	s_cbranch_execz .LBB18_35
; %bb.31:
	s_and_b32 vcc_lo, exec_lo, s1
	s_mov_b32 s6, -1
	s_cbranch_vccz .LBB18_33
; %bb.32:
	v_lshl_add_u64 v[16:17], v[8:9], 3, v[14:15]
	v_mul_f64_e32 v[20:21], v[4:5], v[10:11]
	s_mov_b32 s6, 0
	global_load_b64 v[18:19], v[16:17], off
	s_wait_loadcnt 0x0
	v_fmac_f64_e32 v[20:21], v[6:7], v[18:19]
	global_store_b64 v[16:17], v[20:21], off
.LBB18_33:
	s_and_not1_b32 vcc_lo, exec_lo, s6
	s_cbranch_vccnz .LBB18_35
; %bb.34:
	v_mul_u64_e32 v[8:9], s[2:3], v[8:9]
	v_mul_f64_e32 v[18:19], v[4:5], v[10:11]
	s_delay_alu instid0(VALU_DEP_2)
	v_lshl_add_u64 v[8:9], v[8:9], 3, v[12:13]
	global_load_b64 v[16:17], v[8:9], off
	s_wait_loadcnt 0x0
	v_fmac_f64_e32 v[18:19], v[6:7], v[16:17]
	global_store_b64 v[8:9], v[18:19], off
                                        ; implicit-def: $vgpr8
.LBB18_35:
	s_wait_xcnt 0x0
	s_and_not1_saveexec_b32 s5, s5
	s_cbranch_execz .LBB18_40
; %bb.36:
	v_mul_f64_e32 v[10:11], v[4:5], v[10:11]
	s_and_b32 vcc_lo, exec_lo, s1
	s_mov_b32 s5, -1
	s_cbranch_vccz .LBB18_38
; %bb.37:
	v_lshl_add_u64 v[16:17], v[8:9], 3, v[14:15]
	s_mov_b32 s5, 0
	global_store_b64 v[16:17], v[10:11], off
.LBB18_38:
	s_and_not1_b32 vcc_lo, exec_lo, s5
	s_cbranch_vccnz .LBB18_40
; %bb.39:
	v_mul_u64_e32 v[8:9], s[2:3], v[8:9]
	s_delay_alu instid0(VALU_DEP_1)
	v_lshl_add_u64 v[8:9], v[8:9], 3, v[12:13]
	global_store_b64 v[8:9], v[10:11], off
.LBB18_40:
	s_wait_xcnt 0x0
	s_or_b32 exec_lo, exec_lo, s4
	v_cmp_gt_i32_e32 vcc_lo, s11, v0
	s_and_b32 exec_lo, exec_lo, vcc_lo
	s_cbranch_execz .LBB18_51
; %bb.41:
	v_ashrrev_i32_e32 v1, 31, v0
	v_cndmask_b32_e64 v8, 0, 1, s1
	s_and_saveexec_b32 s1, s0
	s_delay_alu instid0(SALU_CYCLE_1)
	s_xor_b32 s0, exec_lo, s1
	s_cbranch_execz .LBB18_46
; %bb.42:
	s_delay_alu instid0(VALU_DEP_1)
	v_cmp_ne_u32_e32 vcc_lo, 1, v8
	s_mov_b32 s1, -1
	s_cbranch_vccnz .LBB18_44
; %bb.43:
	v_lshl_add_u64 v[8:9], v[0:1], 3, v[14:15]
	v_mul_f64_e32 v[14:15], v[4:5], v[2:3]
	s_mov_b32 s1, 0
	global_load_b64 v[10:11], v[8:9], off
	s_wait_loadcnt 0x0
	v_fmac_f64_e32 v[14:15], v[6:7], v[10:11]
	global_store_b64 v[8:9], v[14:15], off
.LBB18_44:
	s_and_not1_b32 vcc_lo, exec_lo, s1
                                        ; implicit-def: $vgpr8
                                        ; implicit-def: $vgpr14_vgpr15
	s_cbranch_vccnz .LBB18_46
; %bb.45:
	v_mul_u64_e32 v[0:1], s[2:3], v[0:1]
	v_mul_f64_e32 v[2:3], v[4:5], v[2:3]
                                        ; implicit-def: $vgpr4_vgpr5
                                        ; implicit-def: $vgpr14_vgpr15
	s_delay_alu instid0(VALU_DEP_2)
	v_lshl_add_u64 v[0:1], v[0:1], 3, v[12:13]
                                        ; implicit-def: $vgpr12_vgpr13
	global_load_b64 v[8:9], v[0:1], off
	s_wait_loadcnt 0x0
	v_fmac_f64_e32 v[2:3], v[6:7], v[8:9]
                                        ; implicit-def: $vgpr8
	global_store_b64 v[0:1], v[2:3], off
                                        ; implicit-def: $vgpr0_vgpr1_vgpr2_vgpr3
                                        ; implicit-def: $vgpr0
.LBB18_46:
	s_wait_xcnt 0x0
	s_and_not1_saveexec_b32 s0, s0
	s_cbranch_execz .LBB18_51
; %bb.47:
	v_mul_f64_e32 v[2:3], v[4:5], v[2:3]
	v_cmp_ne_u32_e32 vcc_lo, 1, v8
	s_mov_b32 s0, -1
	s_cbranch_vccnz .LBB18_49
; %bb.48:
	v_lshl_add_u64 v[4:5], v[0:1], 3, v[14:15]
	s_mov_b32 s0, 0
	global_store_b64 v[4:5], v[2:3], off
.LBB18_49:
	s_and_not1_b32 vcc_lo, exec_lo, s0
	s_cbranch_vccnz .LBB18_51
; %bb.50:
	v_mul_u64_e32 v[0:1], s[2:3], v[0:1]
	s_delay_alu instid0(VALU_DEP_1)
	v_lshl_add_u64 v[0:1], v[0:1], 3, v[12:13]
	global_store_b64 v[0:1], v[2:3], off
.LBB18_51:
	s_endpgm
	.section	.rodata,"a",@progbits
	.p2align	6, 0x0
	.amdhsa_kernel _ZN9rocsparseL31bsrmm_large_blockdim_kernel_extILj16ELj16ELj2EliddddEEvb20rocsparse_direction_T3_S2_llNS_24const_host_device_scalarIT7_EEPKT2_PKS2_PKT4_S2_PKT5_llS5_PT6_ll16rocsparse_order_21rocsparse_index_base_b
		.amdhsa_group_segment_fixed_size 6144
		.amdhsa_private_segment_fixed_size 0
		.amdhsa_kernarg_size 140
		.amdhsa_user_sgpr_count 2
		.amdhsa_user_sgpr_dispatch_ptr 0
		.amdhsa_user_sgpr_queue_ptr 0
		.amdhsa_user_sgpr_kernarg_segment_ptr 1
		.amdhsa_user_sgpr_dispatch_id 0
		.amdhsa_user_sgpr_kernarg_preload_length 0
		.amdhsa_user_sgpr_kernarg_preload_offset 0
		.amdhsa_user_sgpr_private_segment_size 0
		.amdhsa_wavefront_size32 1
		.amdhsa_uses_dynamic_stack 0
		.amdhsa_enable_private_segment 0
		.amdhsa_system_sgpr_workgroup_id_x 1
		.amdhsa_system_sgpr_workgroup_id_y 1
		.amdhsa_system_sgpr_workgroup_id_z 0
		.amdhsa_system_sgpr_workgroup_info 0
		.amdhsa_system_vgpr_workitem_id 1
		.amdhsa_next_free_vgpr 32
		.amdhsa_next_free_sgpr 29
		.amdhsa_named_barrier_count 0
		.amdhsa_reserve_vcc 1
		.amdhsa_float_round_mode_32 0
		.amdhsa_float_round_mode_16_64 0
		.amdhsa_float_denorm_mode_32 3
		.amdhsa_float_denorm_mode_16_64 3
		.amdhsa_fp16_overflow 0
		.amdhsa_memory_ordered 1
		.amdhsa_forward_progress 1
		.amdhsa_inst_pref_size 14
		.amdhsa_round_robin_scheduling 0
		.amdhsa_exception_fp_ieee_invalid_op 0
		.amdhsa_exception_fp_denorm_src 0
		.amdhsa_exception_fp_ieee_div_zero 0
		.amdhsa_exception_fp_ieee_overflow 0
		.amdhsa_exception_fp_ieee_underflow 0
		.amdhsa_exception_fp_ieee_inexact 0
		.amdhsa_exception_int_div_zero 0
	.end_amdhsa_kernel
	.section	.text._ZN9rocsparseL31bsrmm_large_blockdim_kernel_extILj16ELj16ELj2EliddddEEvb20rocsparse_direction_T3_S2_llNS_24const_host_device_scalarIT7_EEPKT2_PKS2_PKT4_S2_PKT5_llS5_PT6_ll16rocsparse_order_21rocsparse_index_base_b,"axG",@progbits,_ZN9rocsparseL31bsrmm_large_blockdim_kernel_extILj16ELj16ELj2EliddddEEvb20rocsparse_direction_T3_S2_llNS_24const_host_device_scalarIT7_EEPKT2_PKS2_PKT4_S2_PKT5_llS5_PT6_ll16rocsparse_order_21rocsparse_index_base_b,comdat
.Lfunc_end18:
	.size	_ZN9rocsparseL31bsrmm_large_blockdim_kernel_extILj16ELj16ELj2EliddddEEvb20rocsparse_direction_T3_S2_llNS_24const_host_device_scalarIT7_EEPKT2_PKS2_PKT4_S2_PKT5_llS5_PT6_ll16rocsparse_order_21rocsparse_index_base_b, .Lfunc_end18-_ZN9rocsparseL31bsrmm_large_blockdim_kernel_extILj16ELj16ELj2EliddddEEvb20rocsparse_direction_T3_S2_llNS_24const_host_device_scalarIT7_EEPKT2_PKS2_PKT4_S2_PKT5_llS5_PT6_ll16rocsparse_order_21rocsparse_index_base_b
                                        ; -- End function
	.set _ZN9rocsparseL31bsrmm_large_blockdim_kernel_extILj16ELj16ELj2EliddddEEvb20rocsparse_direction_T3_S2_llNS_24const_host_device_scalarIT7_EEPKT2_PKS2_PKT4_S2_PKT5_llS5_PT6_ll16rocsparse_order_21rocsparse_index_base_b.num_vgpr, 32
	.set _ZN9rocsparseL31bsrmm_large_blockdim_kernel_extILj16ELj16ELj2EliddddEEvb20rocsparse_direction_T3_S2_llNS_24const_host_device_scalarIT7_EEPKT2_PKS2_PKT4_S2_PKT5_llS5_PT6_ll16rocsparse_order_21rocsparse_index_base_b.num_agpr, 0
	.set _ZN9rocsparseL31bsrmm_large_blockdim_kernel_extILj16ELj16ELj2EliddddEEvb20rocsparse_direction_T3_S2_llNS_24const_host_device_scalarIT7_EEPKT2_PKS2_PKT4_S2_PKT5_llS5_PT6_ll16rocsparse_order_21rocsparse_index_base_b.numbered_sgpr, 29
	.set _ZN9rocsparseL31bsrmm_large_blockdim_kernel_extILj16ELj16ELj2EliddddEEvb20rocsparse_direction_T3_S2_llNS_24const_host_device_scalarIT7_EEPKT2_PKS2_PKT4_S2_PKT5_llS5_PT6_ll16rocsparse_order_21rocsparse_index_base_b.num_named_barrier, 0
	.set _ZN9rocsparseL31bsrmm_large_blockdim_kernel_extILj16ELj16ELj2EliddddEEvb20rocsparse_direction_T3_S2_llNS_24const_host_device_scalarIT7_EEPKT2_PKS2_PKT4_S2_PKT5_llS5_PT6_ll16rocsparse_order_21rocsparse_index_base_b.private_seg_size, 0
	.set _ZN9rocsparseL31bsrmm_large_blockdim_kernel_extILj16ELj16ELj2EliddddEEvb20rocsparse_direction_T3_S2_llNS_24const_host_device_scalarIT7_EEPKT2_PKS2_PKT4_S2_PKT5_llS5_PT6_ll16rocsparse_order_21rocsparse_index_base_b.uses_vcc, 1
	.set _ZN9rocsparseL31bsrmm_large_blockdim_kernel_extILj16ELj16ELj2EliddddEEvb20rocsparse_direction_T3_S2_llNS_24const_host_device_scalarIT7_EEPKT2_PKS2_PKT4_S2_PKT5_llS5_PT6_ll16rocsparse_order_21rocsparse_index_base_b.uses_flat_scratch, 0
	.set _ZN9rocsparseL31bsrmm_large_blockdim_kernel_extILj16ELj16ELj2EliddddEEvb20rocsparse_direction_T3_S2_llNS_24const_host_device_scalarIT7_EEPKT2_PKS2_PKT4_S2_PKT5_llS5_PT6_ll16rocsparse_order_21rocsparse_index_base_b.has_dyn_sized_stack, 0
	.set _ZN9rocsparseL31bsrmm_large_blockdim_kernel_extILj16ELj16ELj2EliddddEEvb20rocsparse_direction_T3_S2_llNS_24const_host_device_scalarIT7_EEPKT2_PKS2_PKT4_S2_PKT5_llS5_PT6_ll16rocsparse_order_21rocsparse_index_base_b.has_recursion, 0
	.set _ZN9rocsparseL31bsrmm_large_blockdim_kernel_extILj16ELj16ELj2EliddddEEvb20rocsparse_direction_T3_S2_llNS_24const_host_device_scalarIT7_EEPKT2_PKS2_PKT4_S2_PKT5_llS5_PT6_ll16rocsparse_order_21rocsparse_index_base_b.has_indirect_call, 0
	.section	.AMDGPU.csdata,"",@progbits
; Kernel info:
; codeLenInByte = 1764
; TotalNumSgprs: 31
; NumVgprs: 32
; ScratchSize: 0
; MemoryBound: 0
; FloatMode: 240
; IeeeMode: 1
; LDSByteSize: 6144 bytes/workgroup (compile time only)
; SGPRBlocks: 0
; VGPRBlocks: 1
; NumSGPRsForWavesPerEU: 31
; NumVGPRsForWavesPerEU: 32
; NamedBarCnt: 0
; Occupancy: 16
; WaveLimiterHint : 1
; COMPUTE_PGM_RSRC2:SCRATCH_EN: 0
; COMPUTE_PGM_RSRC2:USER_SGPR: 2
; COMPUTE_PGM_RSRC2:TRAP_HANDLER: 0
; COMPUTE_PGM_RSRC2:TGID_X_EN: 1
; COMPUTE_PGM_RSRC2:TGID_Y_EN: 1
; COMPUTE_PGM_RSRC2:TGID_Z_EN: 0
; COMPUTE_PGM_RSRC2:TIDIG_COMP_CNT: 1
	.section	.text._ZN9rocsparseL31bsrmm_large_blockdim_kernel_extILj32ELj32ELj2EliddddEEvb20rocsparse_direction_T3_S2_llNS_24const_host_device_scalarIT7_EEPKT2_PKS2_PKT4_S2_PKT5_llS5_PT6_ll16rocsparse_order_21rocsparse_index_base_b,"axG",@progbits,_ZN9rocsparseL31bsrmm_large_blockdim_kernel_extILj32ELj32ELj2EliddddEEvb20rocsparse_direction_T3_S2_llNS_24const_host_device_scalarIT7_EEPKT2_PKS2_PKT4_S2_PKT5_llS5_PT6_ll16rocsparse_order_21rocsparse_index_base_b,comdat
	.globl	_ZN9rocsparseL31bsrmm_large_blockdim_kernel_extILj32ELj32ELj2EliddddEEvb20rocsparse_direction_T3_S2_llNS_24const_host_device_scalarIT7_EEPKT2_PKS2_PKT4_S2_PKT5_llS5_PT6_ll16rocsparse_order_21rocsparse_index_base_b ; -- Begin function _ZN9rocsparseL31bsrmm_large_blockdim_kernel_extILj32ELj32ELj2EliddddEEvb20rocsparse_direction_T3_S2_llNS_24const_host_device_scalarIT7_EEPKT2_PKS2_PKT4_S2_PKT5_llS5_PT6_ll16rocsparse_order_21rocsparse_index_base_b
	.p2align	8
	.type	_ZN9rocsparseL31bsrmm_large_blockdim_kernel_extILj32ELj32ELj2EliddddEEvb20rocsparse_direction_T3_S2_llNS_24const_host_device_scalarIT7_EEPKT2_PKS2_PKT4_S2_PKT5_llS5_PT6_ll16rocsparse_order_21rocsparse_index_base_b,@function
_ZN9rocsparseL31bsrmm_large_blockdim_kernel_extILj32ELj32ELj2EliddddEEvb20rocsparse_direction_T3_S2_llNS_24const_host_device_scalarIT7_EEPKT2_PKS2_PKT4_S2_PKT5_llS5_PT6_ll16rocsparse_order_21rocsparse_index_base_b: ; @_ZN9rocsparseL31bsrmm_large_blockdim_kernel_extILj32ELj32ELj2EliddddEEvb20rocsparse_direction_T3_S2_llNS_24const_host_device_scalarIT7_EEPKT2_PKS2_PKT4_S2_PKT5_llS5_PT6_ll16rocsparse_order_21rocsparse_index_base_b
; %bb.0:
	s_clause 0x2
	s_load_b96 s[20:22], s[0:1], 0x80
	s_load_b64 s[4:5], s[0:1], 0x20
	s_load_b64 s[2:3], s[0:1], 0x60
	s_wait_kmcnt 0x0
	s_bitcmp1_b32 s22, 0
	v_mov_b64_e32 v[4:5], s[4:5]
	s_cselect_b32 s6, -1, 0
	s_delay_alu instid0(SALU_CYCLE_1)
	s_and_b32 vcc_lo, exec_lo, s6
	s_xor_b32 s6, s6, -1
	s_cbranch_vccnz .LBB19_2
; %bb.1:
	v_mov_b32_e32 v1, 0
	flat_load_b64 v[4:5], v1, s[4:5]
.LBB19_2:
	v_mov_b64_e32 v[6:7], s[2:3]
	s_and_not1_b32 vcc_lo, exec_lo, s6
	s_cbranch_vccnz .LBB19_4
; %bb.3:
	s_wait_xcnt 0x0
	v_mov_b32_e32 v1, 0
	flat_load_b64 v[6:7], v1, s[2:3]
.LBB19_4:
	s_wait_loadcnt_dscnt 0x0
	v_cmp_neq_f64_e32 vcc_lo, 0, v[4:5]
	s_delay_alu instid0(VALU_DEP_2) | instskip(SKIP_2) | instid1(SALU_CYCLE_1)
	v_cmp_neq_f64_e64 s2, 1.0, v[6:7]
	s_mov_b64 s[22:23], 0
	s_or_b32 s2, vcc_lo, s2
	s_and_saveexec_b32 s3, s2
	s_cbranch_execz .LBB19_51
; %bb.5:
	s_clause 0x1
	s_load_b128 s[8:11], s[0:1], 0x0
	s_load_b64 s[2:3], s[0:1], 0x28
	s_bfe_u32 s4, ttmp6, 0x4000c
	s_and_b32 s5, ttmp6, 15
	s_add_co_i32 s4, s4, 1
	s_getreg_b32 s12, hwreg(HW_REG_IB_STS2, 6, 4)
	s_mul_i32 s4, ttmp9, s4
	s_delay_alu instid0(SALU_CYCLE_1)
	s_add_co_i32 s5, s5, s4
	s_cmp_eq_u32 s12, 0
	s_cselect_b32 s6, ttmp9, s5
	s_mov_b32 s5, 0
	s_wait_kmcnt 0x0
	s_cmp_lt_i32 s6, s10
	s_cselect_b32 s28, -1, 0
	s_cmp_ge_i32 s6, s10
	s_cbranch_scc1 .LBB19_7
; %bb.6:
	s_ashr_i32 s7, s6, 31
	s_mov_b32 s4, s21
	s_lshl_b64 s[14:15], s[6:7], 3
	s_delay_alu instid0(SALU_CYCLE_1)
	s_add_nc_u64 s[14:15], s[2:3], s[14:15]
	s_load_b64 s[14:15], s[14:15], 0x0
	s_wait_kmcnt 0x0
	s_sub_nc_u64 s[22:23], s[14:15], s[4:5]
.LBB19_7:
	s_and_not1_b32 vcc_lo, exec_lo, s28
	s_mov_b64 s[24:25], 0
	s_cbranch_vccnz .LBB19_9
; %bb.8:
	s_ashr_i32 s7, s6, 31
	s_delay_alu instid0(SALU_CYCLE_1) | instskip(NEXT) | instid1(SALU_CYCLE_1)
	s_lshl_b64 s[4:5], s[6:7], 3
	s_add_nc_u64 s[2:3], s[2:3], s[4:5]
	s_mov_b32 s5, 0
	s_load_b64 s[2:3], s[2:3], 0x8
	s_mov_b32 s4, s21
	s_wait_kmcnt 0x0
	s_sub_nc_u64 s[24:25], s[2:3], s[4:5]
.LBB19_9:
	s_bfe_u32 s2, ttmp6, 0x40010
	s_load_b32 s7, s[0:1], 0x40
	s_add_co_i32 s2, s2, 1
	s_bfe_u32 s3, ttmp6, 0x40004
	s_mul_i32 s2, ttmp7, s2
	v_bfe_u32 v2, v0, 10, 10
	s_add_co_i32 s3, s3, s2
	s_cmp_eq_u32 s12, 0
	v_and_b32_e32 v22, 0x3ff, v0
	s_cselect_b32 s2, ttmp7, s3
	s_mov_b32 s27, 0
	v_lshl_add_u32 v8, s2, 6, v2
	v_cmp_ge_i64_e64 s2, s[22:23], s[24:25]
	s_delay_alu instid0(VALU_DEP_2)
	v_add_nc_u32_e32 v0, 32, v8
	v_cmp_gt_i32_e64 s3, s11, v8
	s_and_b32 vcc_lo, exec_lo, s2
	s_wait_kmcnt 0x0
	v_cmp_gt_i32_e64 s2, s7, v22
	v_cmp_gt_i32_e64 s4, s11, v0
	s_cbranch_vccnz .LBB19_27
; %bb.10:
	s_clause 0x1
	s_load_b128 s[12:15], s[0:1], 0x30
	s_load_b128 s[16:19], s[0:1], 0x48
	v_mul_lo_u32 v10, s7, v2
	v_dual_mov_b32 v11, 0 :: v_dual_ashrrev_i32 v9, 31, v8
	v_dual_ashrrev_i32 v1, 31, v0 :: v_dual_lshlrev_b32 v18, 3, v2
	v_cmp_gt_i32_e32 vcc_lo, s7, v2
	s_delay_alu instid0(VALU_DEP_3)
	v_dual_mov_b32 v21, v11 :: v_dual_lshlrev_b32 v20, 3, v22
	v_dual_lshlrev_b32 v23, 8, v2 :: v_dual_mov_b32 v19, v11
	s_and_b32 s10, s2, vcc_lo
	s_bitcmp1_b32 s8, 0
	v_or_b32_e32 v28, 0x4000, v18
	s_cselect_b32 s5, -1, 0
	s_cmp_eq_u32 s9, 0
	v_add_nc_u32_e32 v26, v20, v23
	s_cselect_b32 vcc_lo, -1, 0
	s_mul_i32 s26, s7, s7
	s_wait_kmcnt 0x0
	v_lshl_add_u64 v[16:17], v[10:11], 3, s[14:15]
	v_mul_u64_e32 v[12:13], s[18:19], v[8:9]
	v_mul_u64_e32 v[14:15], s[18:19], v[0:1]
	v_mul_lo_u32 v10, s7, v22
	s_delay_alu instid0(VALU_DEP_4) | instskip(NEXT) | instid1(VALU_DEP_2)
	v_add_nc_u64_e32 v[16:17], v[16:17], v[20:21]
	v_lshl_add_u64 v[2:3], v[10:11], 3, s[14:15]
	v_mov_b32_e32 v10, v11
	s_delay_alu instid0(VALU_DEP_2) | instskip(SKIP_1) | instid1(VALU_DEP_2)
	v_add_nc_u64_e32 v[2:3], v[2:3], v[18:19]
	v_lshlrev_b32_e32 v27, 8, v22
	v_dual_cndmask_b32 v16, v16, v2 :: v_dual_add_nc_u32 v25, 0x2000, v23
	s_delay_alu instid0(VALU_DEP_3) | instskip(NEXT) | instid1(VALU_DEP_3)
	v_cndmask_b32_e32 v17, v17, v3, vcc_lo
	v_dual_mov_b32 v3, v11 :: v_dual_add_nc_u32 v24, 0x4000, v27
	v_dual_mov_b32 v2, v11 :: v_dual_add_nc_u32 v27, v28, v27
	s_branch .LBB19_13
.LBB19_11:                              ;   in Loop: Header=BB19_13 Depth=1
	s_or_b32 exec_lo, exec_lo, s9
.LBB19_12:                              ;   in Loop: Header=BB19_13 Depth=1
	s_delay_alu instid0(SALU_CYCLE_1) | instskip(SKIP_1) | instid1(SALU_CYCLE_1)
	s_or_b32 exec_lo, exec_lo, s8
	s_add_nc_u64 s[22:23], s[22:23], 1
	v_cmp_ge_i64_e64 s8, s[22:23], s[24:25]
	s_barrier_signal -1
	s_barrier_wait -1
	s_and_b32 vcc_lo, exec_lo, s8
	s_cbranch_vccnz .LBB19_28
.LBB19_13:                              ; =>This Loop Header: Depth=1
                                        ;     Child Loop BB19_23 Depth 2
                                        ;     Child Loop BB19_26 Depth 2
	s_and_saveexec_b32 s8, s2
	s_cbranch_execz .LBB19_18
; %bb.14:                               ;   in Loop: Header=BB19_13 Depth=1
	s_lshl_b64 s[14:15], s[22:23], 2
	s_delay_alu instid0(SALU_CYCLE_1) | instskip(SKIP_3) | instid1(SALU_CYCLE_1)
	s_add_nc_u64 s[14:15], s[12:13], s[14:15]
	s_load_b32 s9, s[14:15], 0x0
	s_wait_kmcnt 0x0
	s_sub_co_i32 s9, s9, s21
	v_mad_u32 v20, s9, s7, v22
	s_delay_alu instid0(VALU_DEP_1) | instskip(NEXT) | instid1(VALU_DEP_1)
	v_ashrrev_i32_e32 v21, 31, v20
	v_mul_u64_e32 v[18:19], s[18:19], v[20:21]
	v_lshl_add_u64 v[20:21], v[20:21], 3, s[16:17]
	s_delay_alu instid0(VALU_DEP_2)
	v_lshl_add_u64 v[18:19], v[18:19], 3, s[16:17]
	s_and_saveexec_b32 s9, s3
	s_cbranch_execz .LBB19_16
; %bb.15:                               ;   in Loop: Header=BB19_13 Depth=1
	s_delay_alu instid0(VALU_DEP_1) | instskip(SKIP_1) | instid1(VALU_DEP_1)
	v_lshl_add_u64 v[28:29], v[8:9], 3, v[18:19]
	v_lshl_add_u64 v[30:31], v[12:13], 3, v[20:21]
	v_dual_cndmask_b32 v29, v29, v31, s5 :: v_dual_cndmask_b32 v28, v28, v30, s5
	global_load_b64 v[28:29], v[28:29], off
	s_wait_loadcnt 0x0
	ds_store_b64 v26, v[28:29]
.LBB19_16:                              ;   in Loop: Header=BB19_13 Depth=1
	s_or_b32 exec_lo, exec_lo, s9
	s_delay_alu instid0(SALU_CYCLE_1)
	s_and_b32 exec_lo, exec_lo, s4
	s_cbranch_execz .LBB19_18
; %bb.17:                               ;   in Loop: Header=BB19_13 Depth=1
	v_lshl_add_u64 v[20:21], v[14:15], 3, v[20:21]
	v_lshl_add_u64 v[18:19], v[0:1], 3, v[18:19]
	s_delay_alu instid0(VALU_DEP_1)
	v_dual_cndmask_b32 v19, v19, v21, s5 :: v_dual_cndmask_b32 v18, v18, v20, s5
	global_load_b64 v[18:19], v[18:19], off
	s_wait_loadcnt 0x0
	ds_store_b64 v26, v[18:19] offset:8192
.LBB19_18:                              ;   in Loop: Header=BB19_13 Depth=1
	s_or_b32 exec_lo, exec_lo, s8
	s_and_saveexec_b32 s8, s10
	s_cbranch_execz .LBB19_20
; %bb.19:                               ;   in Loop: Header=BB19_13 Depth=1
	s_mul_u64 s[14:15], s[22:23], s[26:27]
	s_delay_alu instid0(SALU_CYCLE_1)
	v_lshl_add_u64 v[18:19], s[14:15], 3, v[16:17]
	global_load_b64 v[18:19], v[18:19], off
	s_wait_loadcnt 0x0
	ds_store_b64 v27, v[18:19]
.LBB19_20:                              ;   in Loop: Header=BB19_13 Depth=1
	s_or_b32 exec_lo, exec_lo, s8
	s_wait_dscnt 0x0
	s_barrier_signal -1
	s_barrier_wait -1
	s_and_saveexec_b32 s8, s2
	s_cbranch_execz .LBB19_12
; %bb.21:                               ;   in Loop: Header=BB19_13 Depth=1
	s_and_saveexec_b32 s9, s3
	s_cbranch_execz .LBB19_24
; %bb.22:                               ;   in Loop: Header=BB19_13 Depth=1
	v_dual_mov_b32 v18, v24 :: v_dual_mov_b32 v19, v23
	s_mov_b32 s14, s7
.LBB19_23:                              ;   Parent Loop BB19_13 Depth=1
                                        ; =>  This Inner Loop Header: Depth=2
	ds_load_b64 v[20:21], v18
	ds_load_b64 v[28:29], v19
	v_dual_add_nc_u32 v19, 8, v19 :: v_dual_add_nc_u32 v18, 8, v18
	s_add_co_i32 s14, s14, -1
	s_delay_alu instid0(SALU_CYCLE_1)
	s_cmp_lg_u32 s14, 0
	s_wait_dscnt 0x0
	v_fmac_f64_e32 v[10:11], v[20:21], v[28:29]
	s_cbranch_scc1 .LBB19_23
.LBB19_24:                              ;   in Loop: Header=BB19_13 Depth=1
	s_or_b32 exec_lo, exec_lo, s9
	s_and_saveexec_b32 s9, s4
	s_cbranch_execz .LBB19_11
; %bb.25:                               ;   in Loop: Header=BB19_13 Depth=1
	v_dual_mov_b32 v18, v24 :: v_dual_mov_b32 v19, v25
	s_mov_b32 s14, s7
.LBB19_26:                              ;   Parent Loop BB19_13 Depth=1
                                        ; =>  This Inner Loop Header: Depth=2
	ds_load_b64 v[20:21], v18
	ds_load_b64 v[28:29], v19
	v_dual_add_nc_u32 v19, 8, v19 :: v_dual_add_nc_u32 v18, 8, v18
	s_add_co_i32 s14, s14, -1
	s_delay_alu instid0(SALU_CYCLE_1)
	s_cmp_lg_u32 s14, 0
	s_wait_dscnt 0x0
	v_fmac_f64_e32 v[2:3], v[20:21], v[28:29]
	s_cbranch_scc1 .LBB19_26
	s_branch .LBB19_11
.LBB19_27:
	v_mov_b32_e32 v10, 0
	s_delay_alu instid0(VALU_DEP_1)
	v_dual_mov_b32 v11, v10 :: v_dual_mov_b32 v2, v10
	v_mov_b32_e32 v3, v10
.LBB19_28:
	s_load_b64 s[4:5], s[0:1], 0x68
	s_and_b32 s2, s28, s2
	s_delay_alu instid0(SALU_CYCLE_1)
	s_and_b32 exec_lo, exec_lo, s2
	s_cbranch_execz .LBB19_51
; %bb.29:
	s_load_b64 s[2:3], s[0:1], 0x70
	v_mad_u32 v12, s7, s6, v22
	s_wait_xcnt 0x0
	v_cmp_neq_f64_e64 s0, 0, v[6:7]
	s_cmp_lg_u32 s20, 1
	s_cselect_b32 s1, -1, 0
	v_ashrrev_i32_e32 v13, 31, v12
	s_wait_kmcnt 0x0
	s_delay_alu instid0(VALU_DEP_1) | instskip(SKIP_1) | instid1(VALU_DEP_2)
	v_mul_u64_e32 v[14:15], s[2:3], v[12:13]
	v_lshl_add_u64 v[12:13], v[12:13], 3, s[4:5]
	v_lshl_add_u64 v[14:15], v[14:15], 3, s[4:5]
	s_mov_b32 s4, exec_lo
	v_cmpx_gt_i32_e64 s11, v8
	s_cbranch_execz .LBB19_40
; %bb.30:
	v_ashrrev_i32_e32 v9, 31, v8
	s_and_saveexec_b32 s5, s0
	s_delay_alu instid0(SALU_CYCLE_1)
	s_xor_b32 s5, exec_lo, s5
	s_cbranch_execz .LBB19_35
; %bb.31:
	s_and_b32 vcc_lo, exec_lo, s1
	s_mov_b32 s6, -1
	s_cbranch_vccz .LBB19_33
; %bb.32:
	v_lshl_add_u64 v[16:17], v[8:9], 3, v[14:15]
	v_mul_f64_e32 v[20:21], v[4:5], v[10:11]
	s_mov_b32 s6, 0
	global_load_b64 v[18:19], v[16:17], off
	s_wait_loadcnt 0x0
	v_fmac_f64_e32 v[20:21], v[6:7], v[18:19]
	global_store_b64 v[16:17], v[20:21], off
.LBB19_33:
	s_and_not1_b32 vcc_lo, exec_lo, s6
	s_cbranch_vccnz .LBB19_35
; %bb.34:
	v_mul_u64_e32 v[8:9], s[2:3], v[8:9]
	v_mul_f64_e32 v[18:19], v[4:5], v[10:11]
	s_delay_alu instid0(VALU_DEP_2)
	v_lshl_add_u64 v[8:9], v[8:9], 3, v[12:13]
	global_load_b64 v[16:17], v[8:9], off
	s_wait_loadcnt 0x0
	v_fmac_f64_e32 v[18:19], v[6:7], v[16:17]
	global_store_b64 v[8:9], v[18:19], off
                                        ; implicit-def: $vgpr8
.LBB19_35:
	s_wait_xcnt 0x0
	s_and_not1_saveexec_b32 s5, s5
	s_cbranch_execz .LBB19_40
; %bb.36:
	v_mul_f64_e32 v[10:11], v[4:5], v[10:11]
	s_and_b32 vcc_lo, exec_lo, s1
	s_mov_b32 s5, -1
	s_cbranch_vccz .LBB19_38
; %bb.37:
	v_lshl_add_u64 v[16:17], v[8:9], 3, v[14:15]
	s_mov_b32 s5, 0
	global_store_b64 v[16:17], v[10:11], off
.LBB19_38:
	s_and_not1_b32 vcc_lo, exec_lo, s5
	s_cbranch_vccnz .LBB19_40
; %bb.39:
	v_mul_u64_e32 v[8:9], s[2:3], v[8:9]
	s_delay_alu instid0(VALU_DEP_1)
	v_lshl_add_u64 v[8:9], v[8:9], 3, v[12:13]
	global_store_b64 v[8:9], v[10:11], off
.LBB19_40:
	s_wait_xcnt 0x0
	s_or_b32 exec_lo, exec_lo, s4
	v_cmp_gt_i32_e32 vcc_lo, s11, v0
	s_and_b32 exec_lo, exec_lo, vcc_lo
	s_cbranch_execz .LBB19_51
; %bb.41:
	v_ashrrev_i32_e32 v1, 31, v0
	v_cndmask_b32_e64 v8, 0, 1, s1
	s_and_saveexec_b32 s1, s0
	s_delay_alu instid0(SALU_CYCLE_1)
	s_xor_b32 s0, exec_lo, s1
	s_cbranch_execz .LBB19_46
; %bb.42:
	s_delay_alu instid0(VALU_DEP_1)
	v_cmp_ne_u32_e32 vcc_lo, 1, v8
	s_mov_b32 s1, -1
	s_cbranch_vccnz .LBB19_44
; %bb.43:
	v_lshl_add_u64 v[8:9], v[0:1], 3, v[14:15]
	v_mul_f64_e32 v[14:15], v[4:5], v[2:3]
	s_mov_b32 s1, 0
	global_load_b64 v[10:11], v[8:9], off
	s_wait_loadcnt 0x0
	v_fmac_f64_e32 v[14:15], v[6:7], v[10:11]
	global_store_b64 v[8:9], v[14:15], off
.LBB19_44:
	s_and_not1_b32 vcc_lo, exec_lo, s1
                                        ; implicit-def: $vgpr8
                                        ; implicit-def: $vgpr14_vgpr15
	s_cbranch_vccnz .LBB19_46
; %bb.45:
	v_mul_u64_e32 v[0:1], s[2:3], v[0:1]
	v_mul_f64_e32 v[2:3], v[4:5], v[2:3]
                                        ; implicit-def: $vgpr4_vgpr5
                                        ; implicit-def: $vgpr14_vgpr15
	s_delay_alu instid0(VALU_DEP_2)
	v_lshl_add_u64 v[0:1], v[0:1], 3, v[12:13]
                                        ; implicit-def: $vgpr12_vgpr13
	global_load_b64 v[8:9], v[0:1], off
	s_wait_loadcnt 0x0
	v_fmac_f64_e32 v[2:3], v[6:7], v[8:9]
                                        ; implicit-def: $vgpr8
	global_store_b64 v[0:1], v[2:3], off
                                        ; implicit-def: $vgpr0_vgpr1_vgpr2_vgpr3
                                        ; implicit-def: $vgpr0
.LBB19_46:
	s_wait_xcnt 0x0
	s_and_not1_saveexec_b32 s0, s0
	s_cbranch_execz .LBB19_51
; %bb.47:
	v_mul_f64_e32 v[2:3], v[4:5], v[2:3]
	v_cmp_ne_u32_e32 vcc_lo, 1, v8
	s_mov_b32 s0, -1
	s_cbranch_vccnz .LBB19_49
; %bb.48:
	v_lshl_add_u64 v[4:5], v[0:1], 3, v[14:15]
	s_mov_b32 s0, 0
	global_store_b64 v[4:5], v[2:3], off
.LBB19_49:
	s_and_not1_b32 vcc_lo, exec_lo, s0
	s_cbranch_vccnz .LBB19_51
; %bb.50:
	v_mul_u64_e32 v[0:1], s[2:3], v[0:1]
	s_delay_alu instid0(VALU_DEP_1)
	v_lshl_add_u64 v[0:1], v[0:1], 3, v[12:13]
	global_store_b64 v[0:1], v[2:3], off
.LBB19_51:
	s_endpgm
	.section	.rodata,"a",@progbits
	.p2align	6, 0x0
	.amdhsa_kernel _ZN9rocsparseL31bsrmm_large_blockdim_kernel_extILj32ELj32ELj2EliddddEEvb20rocsparse_direction_T3_S2_llNS_24const_host_device_scalarIT7_EEPKT2_PKS2_PKT4_S2_PKT5_llS5_PT6_ll16rocsparse_order_21rocsparse_index_base_b
		.amdhsa_group_segment_fixed_size 24576
		.amdhsa_private_segment_fixed_size 0
		.amdhsa_kernarg_size 140
		.amdhsa_user_sgpr_count 2
		.amdhsa_user_sgpr_dispatch_ptr 0
		.amdhsa_user_sgpr_queue_ptr 0
		.amdhsa_user_sgpr_kernarg_segment_ptr 1
		.amdhsa_user_sgpr_dispatch_id 0
		.amdhsa_user_sgpr_kernarg_preload_length 0
		.amdhsa_user_sgpr_kernarg_preload_offset 0
		.amdhsa_user_sgpr_private_segment_size 0
		.amdhsa_wavefront_size32 1
		.amdhsa_uses_dynamic_stack 0
		.amdhsa_enable_private_segment 0
		.amdhsa_system_sgpr_workgroup_id_x 1
		.amdhsa_system_sgpr_workgroup_id_y 1
		.amdhsa_system_sgpr_workgroup_id_z 0
		.amdhsa_system_sgpr_workgroup_info 0
		.amdhsa_system_vgpr_workitem_id 1
		.amdhsa_next_free_vgpr 32
		.amdhsa_next_free_sgpr 29
		.amdhsa_named_barrier_count 0
		.amdhsa_reserve_vcc 1
		.amdhsa_float_round_mode_32 0
		.amdhsa_float_round_mode_16_64 0
		.amdhsa_float_denorm_mode_32 3
		.amdhsa_float_denorm_mode_16_64 3
		.amdhsa_fp16_overflow 0
		.amdhsa_memory_ordered 1
		.amdhsa_forward_progress 1
		.amdhsa_inst_pref_size 14
		.amdhsa_round_robin_scheduling 0
		.amdhsa_exception_fp_ieee_invalid_op 0
		.amdhsa_exception_fp_denorm_src 0
		.amdhsa_exception_fp_ieee_div_zero 0
		.amdhsa_exception_fp_ieee_overflow 0
		.amdhsa_exception_fp_ieee_underflow 0
		.amdhsa_exception_fp_ieee_inexact 0
		.amdhsa_exception_int_div_zero 0
	.end_amdhsa_kernel
	.section	.text._ZN9rocsparseL31bsrmm_large_blockdim_kernel_extILj32ELj32ELj2EliddddEEvb20rocsparse_direction_T3_S2_llNS_24const_host_device_scalarIT7_EEPKT2_PKS2_PKT4_S2_PKT5_llS5_PT6_ll16rocsparse_order_21rocsparse_index_base_b,"axG",@progbits,_ZN9rocsparseL31bsrmm_large_blockdim_kernel_extILj32ELj32ELj2EliddddEEvb20rocsparse_direction_T3_S2_llNS_24const_host_device_scalarIT7_EEPKT2_PKS2_PKT4_S2_PKT5_llS5_PT6_ll16rocsparse_order_21rocsparse_index_base_b,comdat
.Lfunc_end19:
	.size	_ZN9rocsparseL31bsrmm_large_blockdim_kernel_extILj32ELj32ELj2EliddddEEvb20rocsparse_direction_T3_S2_llNS_24const_host_device_scalarIT7_EEPKT2_PKS2_PKT4_S2_PKT5_llS5_PT6_ll16rocsparse_order_21rocsparse_index_base_b, .Lfunc_end19-_ZN9rocsparseL31bsrmm_large_blockdim_kernel_extILj32ELj32ELj2EliddddEEvb20rocsparse_direction_T3_S2_llNS_24const_host_device_scalarIT7_EEPKT2_PKS2_PKT4_S2_PKT5_llS5_PT6_ll16rocsparse_order_21rocsparse_index_base_b
                                        ; -- End function
	.set _ZN9rocsparseL31bsrmm_large_blockdim_kernel_extILj32ELj32ELj2EliddddEEvb20rocsparse_direction_T3_S2_llNS_24const_host_device_scalarIT7_EEPKT2_PKS2_PKT4_S2_PKT5_llS5_PT6_ll16rocsparse_order_21rocsparse_index_base_b.num_vgpr, 32
	.set _ZN9rocsparseL31bsrmm_large_blockdim_kernel_extILj32ELj32ELj2EliddddEEvb20rocsparse_direction_T3_S2_llNS_24const_host_device_scalarIT7_EEPKT2_PKS2_PKT4_S2_PKT5_llS5_PT6_ll16rocsparse_order_21rocsparse_index_base_b.num_agpr, 0
	.set _ZN9rocsparseL31bsrmm_large_blockdim_kernel_extILj32ELj32ELj2EliddddEEvb20rocsparse_direction_T3_S2_llNS_24const_host_device_scalarIT7_EEPKT2_PKS2_PKT4_S2_PKT5_llS5_PT6_ll16rocsparse_order_21rocsparse_index_base_b.numbered_sgpr, 29
	.set _ZN9rocsparseL31bsrmm_large_blockdim_kernel_extILj32ELj32ELj2EliddddEEvb20rocsparse_direction_T3_S2_llNS_24const_host_device_scalarIT7_EEPKT2_PKS2_PKT4_S2_PKT5_llS5_PT6_ll16rocsparse_order_21rocsparse_index_base_b.num_named_barrier, 0
	.set _ZN9rocsparseL31bsrmm_large_blockdim_kernel_extILj32ELj32ELj2EliddddEEvb20rocsparse_direction_T3_S2_llNS_24const_host_device_scalarIT7_EEPKT2_PKS2_PKT4_S2_PKT5_llS5_PT6_ll16rocsparse_order_21rocsparse_index_base_b.private_seg_size, 0
	.set _ZN9rocsparseL31bsrmm_large_blockdim_kernel_extILj32ELj32ELj2EliddddEEvb20rocsparse_direction_T3_S2_llNS_24const_host_device_scalarIT7_EEPKT2_PKS2_PKT4_S2_PKT5_llS5_PT6_ll16rocsparse_order_21rocsparse_index_base_b.uses_vcc, 1
	.set _ZN9rocsparseL31bsrmm_large_blockdim_kernel_extILj32ELj32ELj2EliddddEEvb20rocsparse_direction_T3_S2_llNS_24const_host_device_scalarIT7_EEPKT2_PKS2_PKT4_S2_PKT5_llS5_PT6_ll16rocsparse_order_21rocsparse_index_base_b.uses_flat_scratch, 0
	.set _ZN9rocsparseL31bsrmm_large_blockdim_kernel_extILj32ELj32ELj2EliddddEEvb20rocsparse_direction_T3_S2_llNS_24const_host_device_scalarIT7_EEPKT2_PKS2_PKT4_S2_PKT5_llS5_PT6_ll16rocsparse_order_21rocsparse_index_base_b.has_dyn_sized_stack, 0
	.set _ZN9rocsparseL31bsrmm_large_blockdim_kernel_extILj32ELj32ELj2EliddddEEvb20rocsparse_direction_T3_S2_llNS_24const_host_device_scalarIT7_EEPKT2_PKS2_PKT4_S2_PKT5_llS5_PT6_ll16rocsparse_order_21rocsparse_index_base_b.has_recursion, 0
	.set _ZN9rocsparseL31bsrmm_large_blockdim_kernel_extILj32ELj32ELj2EliddddEEvb20rocsparse_direction_T3_S2_llNS_24const_host_device_scalarIT7_EEPKT2_PKS2_PKT4_S2_PKT5_llS5_PT6_ll16rocsparse_order_21rocsparse_index_base_b.has_indirect_call, 0
	.section	.AMDGPU.csdata,"",@progbits
; Kernel info:
; codeLenInByte = 1760
; TotalNumSgprs: 31
; NumVgprs: 32
; ScratchSize: 0
; MemoryBound: 0
; FloatMode: 240
; IeeeMode: 1
; LDSByteSize: 24576 bytes/workgroup (compile time only)
; SGPRBlocks: 0
; VGPRBlocks: 1
; NumSGPRsForWavesPerEU: 31
; NumVGPRsForWavesPerEU: 32
; NamedBarCnt: 0
; Occupancy: 16
; WaveLimiterHint : 1
; COMPUTE_PGM_RSRC2:SCRATCH_EN: 0
; COMPUTE_PGM_RSRC2:USER_SGPR: 2
; COMPUTE_PGM_RSRC2:TRAP_HANDLER: 0
; COMPUTE_PGM_RSRC2:TGID_X_EN: 1
; COMPUTE_PGM_RSRC2:TGID_Y_EN: 1
; COMPUTE_PGM_RSRC2:TGID_Z_EN: 0
; COMPUTE_PGM_RSRC2:TIDIG_COMP_CNT: 1
	.section	.text._ZN9rocsparseL31bsrmm_large_blockdim_kernel_extILj8ELj8ELj2EllddddEEvb20rocsparse_direction_T3_S2_llNS_24const_host_device_scalarIT7_EEPKT2_PKS2_PKT4_S2_PKT5_llS5_PT6_ll16rocsparse_order_21rocsparse_index_base_b,"axG",@progbits,_ZN9rocsparseL31bsrmm_large_blockdim_kernel_extILj8ELj8ELj2EllddddEEvb20rocsparse_direction_T3_S2_llNS_24const_host_device_scalarIT7_EEPKT2_PKS2_PKT4_S2_PKT5_llS5_PT6_ll16rocsparse_order_21rocsparse_index_base_b,comdat
	.globl	_ZN9rocsparseL31bsrmm_large_blockdim_kernel_extILj8ELj8ELj2EllddddEEvb20rocsparse_direction_T3_S2_llNS_24const_host_device_scalarIT7_EEPKT2_PKS2_PKT4_S2_PKT5_llS5_PT6_ll16rocsparse_order_21rocsparse_index_base_b ; -- Begin function _ZN9rocsparseL31bsrmm_large_blockdim_kernel_extILj8ELj8ELj2EllddddEEvb20rocsparse_direction_T3_S2_llNS_24const_host_device_scalarIT7_EEPKT2_PKS2_PKT4_S2_PKT5_llS5_PT6_ll16rocsparse_order_21rocsparse_index_base_b
	.p2align	8
	.type	_ZN9rocsparseL31bsrmm_large_blockdim_kernel_extILj8ELj8ELj2EllddddEEvb20rocsparse_direction_T3_S2_llNS_24const_host_device_scalarIT7_EEPKT2_PKS2_PKT4_S2_PKT5_llS5_PT6_ll16rocsparse_order_21rocsparse_index_base_b,@function
_ZN9rocsparseL31bsrmm_large_blockdim_kernel_extILj8ELj8ELj2EllddddEEvb20rocsparse_direction_T3_S2_llNS_24const_host_device_scalarIT7_EEPKT2_PKS2_PKT4_S2_PKT5_llS5_PT6_ll16rocsparse_order_21rocsparse_index_base_b: ; @_ZN9rocsparseL31bsrmm_large_blockdim_kernel_extILj8ELj8ELj2EllddddEEvb20rocsparse_direction_T3_S2_llNS_24const_host_device_scalarIT7_EEPKT2_PKS2_PKT4_S2_PKT5_llS5_PT6_ll16rocsparse_order_21rocsparse_index_base_b
; %bb.0:
	s_clause 0x2
	s_load_b96 s[16:18], s[0:1], 0x88
	s_load_b64 s[4:5], s[0:1], 0x28
	s_load_b64 s[2:3], s[0:1], 0x68
	s_wait_kmcnt 0x0
	s_bitcmp1_b32 s18, 0
	v_mov_b64_e32 v[4:5], s[4:5]
	s_cselect_b32 s6, -1, 0
	s_delay_alu instid0(SALU_CYCLE_1)
	s_and_b32 vcc_lo, exec_lo, s6
	s_xor_b32 s6, s6, -1
	s_cbranch_vccnz .LBB20_2
; %bb.1:
	v_mov_b32_e32 v1, 0
	flat_load_b64 v[4:5], v1, s[4:5]
.LBB20_2:
	v_mov_b64_e32 v[6:7], s[2:3]
	s_and_not1_b32 vcc_lo, exec_lo, s6
	s_cbranch_vccnz .LBB20_4
; %bb.3:
	s_wait_xcnt 0x0
	v_mov_b32_e32 v1, 0
	flat_load_b64 v[6:7], v1, s[2:3]
.LBB20_4:
	s_wait_loadcnt_dscnt 0x0
	v_cmp_neq_f64_e32 vcc_lo, 0, v[4:5]
	s_delay_alu instid0(VALU_DEP_2) | instskip(SKIP_2) | instid1(SALU_CYCLE_1)
	v_cmp_neq_f64_e64 s2, 1.0, v[6:7]
	s_mov_b64 s[20:21], 0
	s_or_b32 s2, vcc_lo, s2
	s_and_saveexec_b32 s3, s2
	s_cbranch_execz .LBB20_51
; %bb.5:
	s_clause 0x1
	s_load_b128 s[4:7], s[0:1], 0x8
	s_load_b64 s[2:3], s[0:1], 0x30
	s_bfe_u32 s8, ttmp6, 0x4000c
	s_and_b32 s9, ttmp6, 15
	s_add_co_i32 s8, s8, 1
	s_delay_alu instid0(SALU_CYCLE_1) | instskip(SKIP_4) | instid1(SALU_CYCLE_1)
	s_mul_i32 s10, ttmp9, s8
	s_getreg_b32 s8, hwreg(HW_REG_IB_STS2, 6, 4)
	s_add_co_i32 s9, s9, s10
	s_cmp_eq_u32 s8, 0
	s_cselect_b32 s18, ttmp9, s9
	s_ashr_i32 s19, s18, 31
	s_wait_kmcnt 0x0
	v_cmp_le_i64_e64 s9, s[4:5], s[18:19]
	v_cmp_gt_i64_e64 s33, s[4:5], s[18:19]
	s_mov_b32 s5, 0
	s_and_b32 vcc_lo, exec_lo, s9
	s_cbranch_vccnz .LBB20_7
; %bb.6:
	s_lshl_b64 s[10:11], s[18:19], 3
	s_mov_b32 s4, s17
	s_add_nc_u64 s[10:11], s[2:3], s[10:11]
	s_load_b64 s[10:11], s[10:11], 0x0
	s_wait_kmcnt 0x0
	s_sub_nc_u64 s[20:21], s[10:11], s[4:5]
.LBB20_7:
	s_and_not1_b32 vcc_lo, exec_lo, s33
	s_mov_b64 s[26:27], 0
	s_cbranch_vccnz .LBB20_9
; %bb.8:
	s_lshl_b64 s[4:5], s[18:19], 3
	s_delay_alu instid0(SALU_CYCLE_1)
	s_add_nc_u64 s[2:3], s[2:3], s[4:5]
	s_mov_b32 s5, 0
	s_load_b64 s[2:3], s[2:3], 0x8
	s_mov_b32 s4, s17
	s_wait_kmcnt 0x0
	s_sub_nc_u64 s[26:27], s[2:3], s[4:5]
.LBB20_9:
	s_bfe_u32 s2, ttmp6, 0x40010
	s_clause 0x1
	s_load_b64 s[22:23], s[0:1], 0x48
	s_load_b64 s[24:25], s[0:1], 0x70
	s_add_co_i32 s2, s2, 1
	s_bfe_u32 s3, ttmp6, 0x40004
	s_mul_i32 s2, ttmp7, s2
	v_bfe_u32 v18, v0, 10, 10
	s_add_co_i32 s3, s3, s2
	s_cmp_eq_u32 s8, 0
	v_and_b32_e32 v12, 0x3ff, v0
	s_cselect_b32 s2, ttmp7, s3
	v_cmp_ge_i64_e64 s5, s[20:21], s[26:27]
	v_lshl_add_u32 v10, s2, 4, v18
	v_mov_b32_e32 v11, 0
	s_mov_b32 s29, 0
	s_delay_alu instid0(VALU_DEP_1)
	v_dual_mov_b32 v13, v11 :: v_dual_add_nc_u32 v8, 8, v10
	v_mov_b32_e32 v9, v11
	v_cmp_gt_i64_e64 s3, s[6:7], v[10:11]
	s_and_b32 vcc_lo, exec_lo, s5
	s_wait_kmcnt 0x0
	v_cmp_gt_i64_e64 s2, s[22:23], v[12:13]
	v_cmp_gt_i64_e64 s4, s[6:7], v[8:9]
	s_cbranch_vccnz .LBB20_27
; %bb.10:
	v_dual_mov_b32 v19, v11 :: v_dual_lshlrev_b32 v24, 3, v18
	s_load_b128 s[8:11], s[0:1], 0x50
	v_mul_u64_e32 v[20:21], s[22:23], v[12:13]
	s_clause 0x1
	s_load_b128 s[12:15], s[0:1], 0x38
	s_load_b64 s[34:35], s[0:1], 0x0
	v_mul_u64_e32 v[22:23], s[22:23], v[18:19]
	v_cmp_gt_i64_e32 vcc_lo, s[22:23], v[18:19]
	v_dual_mov_b32 v31, v11 :: v_dual_lshlrev_b32 v30, 3, v12
	v_dual_lshlrev_b32 v26, 6, v18 :: v_dual_lshlrev_b32 v32, 6, v12
	v_dual_mov_b32 v25, v11 :: v_dual_mov_b32 v0, v11
	s_and_b32 s19, s2, vcc_lo
	v_cmp_gt_i64_e64 s36, s[22:23], 0
	v_dual_mov_b32 v1, v11 :: v_dual_mov_b32 v2, v11
	v_dual_mov_b32 v3, v11 :: v_dual_add_nc_u32 v28, 0x200, v26
	v_add_nc_u32_e32 v27, 0x400, v32
	s_mul_u64 s[30:31], s[22:23], s[22:23]
	s_wait_kmcnt 0x0
	v_mul_u64_e32 v[14:15], s[10:11], v[10:11]
	v_mul_u64_e32 v[16:17], s[10:11], v[8:9]
	s_mov_b32 s28, s17
	s_bitcmp1_b32 s34, 0
	s_cselect_b32 s5, -1, 0
	s_cmp_eq_u32 s35, 0
	s_cselect_b32 vcc_lo, -1, 0
	s_and_b32 s17, s3, s36
	s_and_b32 s34, s4, s36
	v_lshl_add_u64 v[18:19], v[20:21], 3, s[14:15]
	v_lshl_add_u64 v[20:21], v[22:23], 3, s[14:15]
	s_delay_alu instid0(VALU_DEP_2) | instskip(SKIP_1) | instid1(VALU_DEP_3)
	v_add_nc_u64_e32 v[22:23], v[18:19], v[24:25]
	v_add_nc_u64_e32 v[18:19], s[8:9], v[30:31]
	;; [unrolled: 1-line block ×3, first 2 shown]
	v_add_nc_u32_e32 v33, 0x400, v24
	s_delay_alu instid0(VALU_DEP_2) | instskip(NEXT) | instid1(VALU_DEP_2)
	v_dual_add_nc_u32 v29, v30, v26 :: v_dual_cndmask_b32 v21, v21, v23, vcc_lo
	v_dual_cndmask_b32 v20, v20, v22, vcc_lo :: v_dual_add_nc_u32 v30, v33, v32
	s_branch .LBB20_13
.LBB20_11:                              ;   in Loop: Header=BB20_13 Depth=1
	s_or_b32 exec_lo, exec_lo, s36
.LBB20_12:                              ;   in Loop: Header=BB20_13 Depth=1
	s_delay_alu instid0(SALU_CYCLE_1) | instskip(SKIP_1) | instid1(SALU_CYCLE_1)
	s_or_b32 exec_lo, exec_lo, s35
	s_add_nc_u64 s[20:21], s[20:21], 1
	v_cmp_ge_i64_e64 s14, s[20:21], s[26:27]
	s_barrier_signal -1
	s_barrier_wait -1
	s_and_b32 vcc_lo, exec_lo, s14
	s_cbranch_vccnz .LBB20_28
.LBB20_13:                              ; =>This Loop Header: Depth=1
                                        ;     Child Loop BB20_23 Depth 2
                                        ;     Child Loop BB20_26 Depth 2
	s_and_saveexec_b32 s14, s2
	s_cbranch_execz .LBB20_18
; %bb.14:                               ;   in Loop: Header=BB20_13 Depth=1
	s_lshl_b64 s[36:37], s[20:21], 3
	s_delay_alu instid0(SALU_CYCLE_1) | instskip(SKIP_3) | instid1(SALU_CYCLE_1)
	s_add_nc_u64 s[36:37], s[12:13], s[36:37]
	s_load_b64 s[36:37], s[36:37], 0x0
	s_wait_kmcnt 0x0
	s_sub_nc_u64 s[36:37], s[36:37], s[28:29]
	s_mul_u64 s[36:37], s[36:37], s[22:23]
	s_delay_alu instid0(SALU_CYCLE_1) | instskip(SKIP_1) | instid1(VALU_DEP_2)
	v_add_nc_u64_e32 v[22:23], s[36:37], v[12:13]
	v_lshl_add_u64 v[24:25], s[36:37], 3, v[18:19]
	v_mul_u64_e32 v[22:23], s[10:11], v[22:23]
	s_delay_alu instid0(VALU_DEP_1)
	v_lshl_add_u64 v[22:23], v[22:23], 3, s[8:9]
	s_and_saveexec_b32 s15, s3
	s_cbranch_execz .LBB20_16
; %bb.15:                               ;   in Loop: Header=BB20_13 Depth=1
	s_delay_alu instid0(VALU_DEP_1) | instskip(SKIP_1) | instid1(VALU_DEP_1)
	v_lshl_add_u64 v[32:33], v[10:11], 3, v[22:23]
	v_lshl_add_u64 v[34:35], v[14:15], 3, v[24:25]
	v_dual_cndmask_b32 v33, v33, v35, s5 :: v_dual_cndmask_b32 v32, v32, v34, s5
	global_load_b64 v[32:33], v[32:33], off
	s_wait_loadcnt 0x0
	ds_store_b64 v29, v[32:33]
.LBB20_16:                              ;   in Loop: Header=BB20_13 Depth=1
	s_or_b32 exec_lo, exec_lo, s15
	s_delay_alu instid0(SALU_CYCLE_1)
	s_and_b32 exec_lo, exec_lo, s4
	s_cbranch_execz .LBB20_18
; %bb.17:                               ;   in Loop: Header=BB20_13 Depth=1
	v_lshl_add_u64 v[24:25], v[16:17], 3, v[24:25]
	v_lshl_add_u64 v[22:23], v[8:9], 3, v[22:23]
	s_delay_alu instid0(VALU_DEP_1)
	v_dual_cndmask_b32 v23, v23, v25, s5 :: v_dual_cndmask_b32 v22, v22, v24, s5
	global_load_b64 v[22:23], v[22:23], off
	s_wait_loadcnt 0x0
	ds_store_b64 v29, v[22:23] offset:512
.LBB20_18:                              ;   in Loop: Header=BB20_13 Depth=1
	s_or_b32 exec_lo, exec_lo, s14
	s_and_saveexec_b32 s14, s19
	s_cbranch_execz .LBB20_20
; %bb.19:                               ;   in Loop: Header=BB20_13 Depth=1
	s_mul_u64 s[36:37], s[30:31], s[20:21]
	s_delay_alu instid0(SALU_CYCLE_1)
	v_lshl_add_u64 v[22:23], s[36:37], 3, v[20:21]
	global_load_b64 v[22:23], v[22:23], off
	s_wait_loadcnt 0x0
	ds_store_b64 v30, v[22:23]
.LBB20_20:                              ;   in Loop: Header=BB20_13 Depth=1
	s_or_b32 exec_lo, exec_lo, s14
	s_wait_dscnt 0x0
	s_barrier_signal -1
	s_barrier_wait -1
	s_and_saveexec_b32 s35, s2
	s_cbranch_execz .LBB20_12
; %bb.21:                               ;   in Loop: Header=BB20_13 Depth=1
	s_and_saveexec_b32 s36, s17
	s_cbranch_execz .LBB20_24
; %bb.22:                               ;   in Loop: Header=BB20_13 Depth=1
	v_dual_mov_b32 v22, v27 :: v_dual_mov_b32 v23, v26
	s_mov_b64 s[14:15], s[22:23]
.LBB20_23:                              ;   Parent Loop BB20_13 Depth=1
                                        ; =>  This Inner Loop Header: Depth=2
	ds_load_b64 v[24:25], v22
	ds_load_b64 v[32:33], v23
	v_dual_add_nc_u32 v23, 8, v23 :: v_dual_add_nc_u32 v22, 8, v22
	s_add_nc_u64 s[14:15], s[14:15], -1
	s_delay_alu instid0(SALU_CYCLE_1)
	s_cmp_lg_u64 s[14:15], 0
	s_wait_dscnt 0x0
	v_fmac_f64_e32 v[0:1], v[24:25], v[32:33]
	s_cbranch_scc1 .LBB20_23
.LBB20_24:                              ;   in Loop: Header=BB20_13 Depth=1
	s_or_b32 exec_lo, exec_lo, s36
	s_and_saveexec_b32 s36, s34
	s_cbranch_execz .LBB20_11
; %bb.25:                               ;   in Loop: Header=BB20_13 Depth=1
	v_dual_mov_b32 v22, v27 :: v_dual_mov_b32 v23, v28
	s_mov_b64 s[14:15], s[22:23]
.LBB20_26:                              ;   Parent Loop BB20_13 Depth=1
                                        ; =>  This Inner Loop Header: Depth=2
	ds_load_b64 v[24:25], v22
	ds_load_b64 v[32:33], v23
	v_dual_add_nc_u32 v23, 8, v23 :: v_dual_add_nc_u32 v22, 8, v22
	s_add_nc_u64 s[14:15], s[14:15], -1
	s_delay_alu instid0(SALU_CYCLE_1)
	s_cmp_lg_u64 s[14:15], 0
	s_wait_dscnt 0x0
	v_fmac_f64_e32 v[2:3], v[24:25], v[32:33]
	s_cbranch_scc1 .LBB20_26
	s_branch .LBB20_11
.LBB20_27:
	v_dual_mov_b32 v0, v11 :: v_dual_mov_b32 v1, v11
	v_dual_mov_b32 v2, v11 :: v_dual_mov_b32 v3, v11
.LBB20_28:
	s_and_b32 s2, s33, s2
	s_delay_alu instid0(SALU_CYCLE_1)
	s_and_b32 exec_lo, exec_lo, s2
	s_cbranch_execz .LBB20_51
; %bb.29:
	v_mad_nc_u64_u32 v[12:13], s22, s18, v[12:13]
	s_load_b64 s[2:3], s[0:1], 0x78
	s_wait_xcnt 0x0
	v_cmp_neq_f64_e64 s0, 0, v[6:7]
	s_cmp_lg_u32 s16, 1
	s_mov_b32 s4, exec_lo
	s_cselect_b32 s1, -1, 0
	v_mad_u32 v13, s23, s18, v13
	s_wait_kmcnt 0x0
	s_delay_alu instid0(VALU_DEP_1) | instskip(SKIP_1) | instid1(VALU_DEP_2)
	v_mul_u64_e32 v[14:15], s[2:3], v[12:13]
	v_lshl_add_u64 v[12:13], v[12:13], 3, s[24:25]
	v_lshl_add_u64 v[14:15], v[14:15], 3, s[24:25]
	v_cmpx_gt_i64_e64 s[6:7], v[10:11]
	s_cbranch_execz .LBB20_40
; %bb.30:
	s_and_saveexec_b32 s5, s0
	s_delay_alu instid0(SALU_CYCLE_1)
	s_xor_b32 s5, exec_lo, s5
	s_cbranch_execz .LBB20_35
; %bb.31:
	s_and_b32 vcc_lo, exec_lo, s1
	s_mov_b32 s8, -1
	s_cbranch_vccz .LBB20_33
; %bb.32:
	v_lshl_add_u64 v[16:17], v[10:11], 3, v[14:15]
	v_mul_f64_e32 v[20:21], v[4:5], v[0:1]
	s_mov_b32 s8, 0
	global_load_b64 v[18:19], v[16:17], off
	s_wait_loadcnt 0x0
	v_fmac_f64_e32 v[20:21], v[6:7], v[18:19]
	global_store_b64 v[16:17], v[20:21], off
.LBB20_33:
	s_and_not1_b32 vcc_lo, exec_lo, s8
	s_cbranch_vccnz .LBB20_35
; %bb.34:
	v_mul_u64_e32 v[10:11], s[2:3], v[10:11]
	v_mul_f64_e32 v[18:19], v[4:5], v[0:1]
	s_delay_alu instid0(VALU_DEP_2)
	v_lshl_add_u64 v[10:11], v[10:11], 3, v[12:13]
	global_load_b64 v[16:17], v[10:11], off
	s_wait_loadcnt 0x0
	v_fmac_f64_e32 v[18:19], v[6:7], v[16:17]
	global_store_b64 v[10:11], v[18:19], off
                                        ; implicit-def: $vgpr10_vgpr11
.LBB20_35:
	s_wait_xcnt 0x0
	s_and_not1_saveexec_b32 s5, s5
	s_cbranch_execz .LBB20_40
; %bb.36:
	v_mul_f64_e32 v[0:1], v[4:5], v[0:1]
	s_and_b32 vcc_lo, exec_lo, s1
	s_mov_b32 s5, -1
	s_cbranch_vccz .LBB20_38
; %bb.37:
	v_lshl_add_u64 v[16:17], v[10:11], 3, v[14:15]
	s_mov_b32 s5, 0
	global_store_b64 v[16:17], v[0:1], off
.LBB20_38:
	s_and_not1_b32 vcc_lo, exec_lo, s5
	s_cbranch_vccnz .LBB20_40
; %bb.39:
	v_mul_u64_e32 v[10:11], s[2:3], v[10:11]
	s_delay_alu instid0(VALU_DEP_1)
	v_lshl_add_u64 v[10:11], v[10:11], 3, v[12:13]
	global_store_b64 v[10:11], v[0:1], off
.LBB20_40:
	s_wait_xcnt 0x0
	s_or_b32 exec_lo, exec_lo, s4
	v_cmp_gt_i64_e32 vcc_lo, s[6:7], v[8:9]
	s_and_b32 exec_lo, exec_lo, vcc_lo
	s_cbranch_execz .LBB20_51
; %bb.41:
	v_cndmask_b32_e64 v10, 0, 1, s1
	s_and_saveexec_b32 s1, s0
	s_delay_alu instid0(SALU_CYCLE_1)
	s_xor_b32 s0, exec_lo, s1
	s_cbranch_execz .LBB20_46
; %bb.42:
	s_delay_alu instid0(VALU_DEP_1)
	v_cmp_ne_u32_e32 vcc_lo, 1, v10
	s_mov_b32 s1, -1
	s_cbranch_vccnz .LBB20_44
; %bb.43:
	v_lshl_add_u64 v[0:1], v[8:9], 3, v[14:15]
	v_mul_f64_e32 v[14:15], v[4:5], v[2:3]
	s_mov_b32 s1, 0
	global_load_b64 v[10:11], v[0:1], off
	s_wait_loadcnt 0x0
	v_fmac_f64_e32 v[14:15], v[6:7], v[10:11]
	global_store_b64 v[0:1], v[14:15], off
.LBB20_44:
	s_and_not1_b32 vcc_lo, exec_lo, s1
                                        ; implicit-def: $vgpr10
                                        ; implicit-def: $vgpr14_vgpr15
	s_cbranch_vccnz .LBB20_46
; %bb.45:
	s_wait_xcnt 0x0
	v_mul_u64_e32 v[0:1], s[2:3], v[8:9]
	v_mul_f64_e32 v[2:3], v[4:5], v[2:3]
                                        ; implicit-def: $vgpr4_vgpr5
                                        ; implicit-def: $vgpr10
                                        ; implicit-def: $vgpr14_vgpr15
	s_delay_alu instid0(VALU_DEP_2)
	v_lshl_add_u64 v[0:1], v[0:1], 3, v[12:13]
                                        ; implicit-def: $vgpr12_vgpr13
	global_load_b64 v[8:9], v[0:1], off
	s_wait_loadcnt 0x0
	v_fmac_f64_e32 v[2:3], v[6:7], v[8:9]
                                        ; implicit-def: $vgpr8_vgpr9
	global_store_b64 v[0:1], v[2:3], off
                                        ; implicit-def: $vgpr0_vgpr1_vgpr2_vgpr3
.LBB20_46:
	s_wait_xcnt 0x0
	s_and_not1_saveexec_b32 s0, s0
	s_cbranch_execz .LBB20_51
; %bb.47:
	v_mul_f64_e32 v[0:1], v[4:5], v[2:3]
	v_cmp_ne_u32_e32 vcc_lo, 1, v10
	s_mov_b32 s0, -1
	s_cbranch_vccnz .LBB20_49
; %bb.48:
	v_lshl_add_u64 v[2:3], v[8:9], 3, v[14:15]
	s_mov_b32 s0, 0
	global_store_b64 v[2:3], v[0:1], off
.LBB20_49:
	s_and_not1_b32 vcc_lo, exec_lo, s0
	s_cbranch_vccnz .LBB20_51
; %bb.50:
	s_wait_xcnt 0x0
	v_mul_u64_e32 v[2:3], s[2:3], v[8:9]
	s_delay_alu instid0(VALU_DEP_1)
	v_lshl_add_u64 v[2:3], v[2:3], 3, v[12:13]
	global_store_b64 v[2:3], v[0:1], off
.LBB20_51:
	s_endpgm
	.section	.rodata,"a",@progbits
	.p2align	6, 0x0
	.amdhsa_kernel _ZN9rocsparseL31bsrmm_large_blockdim_kernel_extILj8ELj8ELj2EllddddEEvb20rocsparse_direction_T3_S2_llNS_24const_host_device_scalarIT7_EEPKT2_PKS2_PKT4_S2_PKT5_llS5_PT6_ll16rocsparse_order_21rocsparse_index_base_b
		.amdhsa_group_segment_fixed_size 1536
		.amdhsa_private_segment_fixed_size 0
		.amdhsa_kernarg_size 148
		.amdhsa_user_sgpr_count 2
		.amdhsa_user_sgpr_dispatch_ptr 0
		.amdhsa_user_sgpr_queue_ptr 0
		.amdhsa_user_sgpr_kernarg_segment_ptr 1
		.amdhsa_user_sgpr_dispatch_id 0
		.amdhsa_user_sgpr_kernarg_preload_length 0
		.amdhsa_user_sgpr_kernarg_preload_offset 0
		.amdhsa_user_sgpr_private_segment_size 0
		.amdhsa_wavefront_size32 1
		.amdhsa_uses_dynamic_stack 0
		.amdhsa_enable_private_segment 0
		.amdhsa_system_sgpr_workgroup_id_x 1
		.amdhsa_system_sgpr_workgroup_id_y 1
		.amdhsa_system_sgpr_workgroup_id_z 0
		.amdhsa_system_sgpr_workgroup_info 0
		.amdhsa_system_vgpr_workitem_id 1
		.amdhsa_next_free_vgpr 36
		.amdhsa_next_free_sgpr 38
		.amdhsa_named_barrier_count 0
		.amdhsa_reserve_vcc 1
		.amdhsa_float_round_mode_32 0
		.amdhsa_float_round_mode_16_64 0
		.amdhsa_float_denorm_mode_32 3
		.amdhsa_float_denorm_mode_16_64 3
		.amdhsa_fp16_overflow 0
		.amdhsa_memory_ordered 1
		.amdhsa_forward_progress 1
		.amdhsa_inst_pref_size 14
		.amdhsa_round_robin_scheduling 0
		.amdhsa_exception_fp_ieee_invalid_op 0
		.amdhsa_exception_fp_denorm_src 0
		.amdhsa_exception_fp_ieee_div_zero 0
		.amdhsa_exception_fp_ieee_overflow 0
		.amdhsa_exception_fp_ieee_underflow 0
		.amdhsa_exception_fp_ieee_inexact 0
		.amdhsa_exception_int_div_zero 0
	.end_amdhsa_kernel
	.section	.text._ZN9rocsparseL31bsrmm_large_blockdim_kernel_extILj8ELj8ELj2EllddddEEvb20rocsparse_direction_T3_S2_llNS_24const_host_device_scalarIT7_EEPKT2_PKS2_PKT4_S2_PKT5_llS5_PT6_ll16rocsparse_order_21rocsparse_index_base_b,"axG",@progbits,_ZN9rocsparseL31bsrmm_large_blockdim_kernel_extILj8ELj8ELj2EllddddEEvb20rocsparse_direction_T3_S2_llNS_24const_host_device_scalarIT7_EEPKT2_PKS2_PKT4_S2_PKT5_llS5_PT6_ll16rocsparse_order_21rocsparse_index_base_b,comdat
.Lfunc_end20:
	.size	_ZN9rocsparseL31bsrmm_large_blockdim_kernel_extILj8ELj8ELj2EllddddEEvb20rocsparse_direction_T3_S2_llNS_24const_host_device_scalarIT7_EEPKT2_PKS2_PKT4_S2_PKT5_llS5_PT6_ll16rocsparse_order_21rocsparse_index_base_b, .Lfunc_end20-_ZN9rocsparseL31bsrmm_large_blockdim_kernel_extILj8ELj8ELj2EllddddEEvb20rocsparse_direction_T3_S2_llNS_24const_host_device_scalarIT7_EEPKT2_PKS2_PKT4_S2_PKT5_llS5_PT6_ll16rocsparse_order_21rocsparse_index_base_b
                                        ; -- End function
	.set _ZN9rocsparseL31bsrmm_large_blockdim_kernel_extILj8ELj8ELj2EllddddEEvb20rocsparse_direction_T3_S2_llNS_24const_host_device_scalarIT7_EEPKT2_PKS2_PKT4_S2_PKT5_llS5_PT6_ll16rocsparse_order_21rocsparse_index_base_b.num_vgpr, 36
	.set _ZN9rocsparseL31bsrmm_large_blockdim_kernel_extILj8ELj8ELj2EllddddEEvb20rocsparse_direction_T3_S2_llNS_24const_host_device_scalarIT7_EEPKT2_PKS2_PKT4_S2_PKT5_llS5_PT6_ll16rocsparse_order_21rocsparse_index_base_b.num_agpr, 0
	.set _ZN9rocsparseL31bsrmm_large_blockdim_kernel_extILj8ELj8ELj2EllddddEEvb20rocsparse_direction_T3_S2_llNS_24const_host_device_scalarIT7_EEPKT2_PKS2_PKT4_S2_PKT5_llS5_PT6_ll16rocsparse_order_21rocsparse_index_base_b.numbered_sgpr, 38
	.set _ZN9rocsparseL31bsrmm_large_blockdim_kernel_extILj8ELj8ELj2EllddddEEvb20rocsparse_direction_T3_S2_llNS_24const_host_device_scalarIT7_EEPKT2_PKS2_PKT4_S2_PKT5_llS5_PT6_ll16rocsparse_order_21rocsparse_index_base_b.num_named_barrier, 0
	.set _ZN9rocsparseL31bsrmm_large_blockdim_kernel_extILj8ELj8ELj2EllddddEEvb20rocsparse_direction_T3_S2_llNS_24const_host_device_scalarIT7_EEPKT2_PKS2_PKT4_S2_PKT5_llS5_PT6_ll16rocsparse_order_21rocsparse_index_base_b.private_seg_size, 0
	.set _ZN9rocsparseL31bsrmm_large_blockdim_kernel_extILj8ELj8ELj2EllddddEEvb20rocsparse_direction_T3_S2_llNS_24const_host_device_scalarIT7_EEPKT2_PKS2_PKT4_S2_PKT5_llS5_PT6_ll16rocsparse_order_21rocsparse_index_base_b.uses_vcc, 1
	.set _ZN9rocsparseL31bsrmm_large_blockdim_kernel_extILj8ELj8ELj2EllddddEEvb20rocsparse_direction_T3_S2_llNS_24const_host_device_scalarIT7_EEPKT2_PKS2_PKT4_S2_PKT5_llS5_PT6_ll16rocsparse_order_21rocsparse_index_base_b.uses_flat_scratch, 0
	.set _ZN9rocsparseL31bsrmm_large_blockdim_kernel_extILj8ELj8ELj2EllddddEEvb20rocsparse_direction_T3_S2_llNS_24const_host_device_scalarIT7_EEPKT2_PKS2_PKT4_S2_PKT5_llS5_PT6_ll16rocsparse_order_21rocsparse_index_base_b.has_dyn_sized_stack, 0
	.set _ZN9rocsparseL31bsrmm_large_blockdim_kernel_extILj8ELj8ELj2EllddddEEvb20rocsparse_direction_T3_S2_llNS_24const_host_device_scalarIT7_EEPKT2_PKS2_PKT4_S2_PKT5_llS5_PT6_ll16rocsparse_order_21rocsparse_index_base_b.has_recursion, 0
	.set _ZN9rocsparseL31bsrmm_large_blockdim_kernel_extILj8ELj8ELj2EllddddEEvb20rocsparse_direction_T3_S2_llNS_24const_host_device_scalarIT7_EEPKT2_PKS2_PKT4_S2_PKT5_llS5_PT6_ll16rocsparse_order_21rocsparse_index_base_b.has_indirect_call, 0
	.section	.AMDGPU.csdata,"",@progbits
; Kernel info:
; codeLenInByte = 1784
; TotalNumSgprs: 40
; NumVgprs: 36
; ScratchSize: 0
; MemoryBound: 0
; FloatMode: 240
; IeeeMode: 1
; LDSByteSize: 1536 bytes/workgroup (compile time only)
; SGPRBlocks: 0
; VGPRBlocks: 2
; NumSGPRsForWavesPerEU: 40
; NumVGPRsForWavesPerEU: 36
; NamedBarCnt: 0
; Occupancy: 16
; WaveLimiterHint : 1
; COMPUTE_PGM_RSRC2:SCRATCH_EN: 0
; COMPUTE_PGM_RSRC2:USER_SGPR: 2
; COMPUTE_PGM_RSRC2:TRAP_HANDLER: 0
; COMPUTE_PGM_RSRC2:TGID_X_EN: 1
; COMPUTE_PGM_RSRC2:TGID_Y_EN: 1
; COMPUTE_PGM_RSRC2:TGID_Z_EN: 0
; COMPUTE_PGM_RSRC2:TIDIG_COMP_CNT: 1
	.section	.text._ZN9rocsparseL31bsrmm_large_blockdim_kernel_extILj4ELj16ELj2EllddddEEvb20rocsparse_direction_T3_S2_llNS_24const_host_device_scalarIT7_EEPKT2_PKS2_PKT4_S2_PKT5_llS5_PT6_ll16rocsparse_order_21rocsparse_index_base_b,"axG",@progbits,_ZN9rocsparseL31bsrmm_large_blockdim_kernel_extILj4ELj16ELj2EllddddEEvb20rocsparse_direction_T3_S2_llNS_24const_host_device_scalarIT7_EEPKT2_PKS2_PKT4_S2_PKT5_llS5_PT6_ll16rocsparse_order_21rocsparse_index_base_b,comdat
	.globl	_ZN9rocsparseL31bsrmm_large_blockdim_kernel_extILj4ELj16ELj2EllddddEEvb20rocsparse_direction_T3_S2_llNS_24const_host_device_scalarIT7_EEPKT2_PKS2_PKT4_S2_PKT5_llS5_PT6_ll16rocsparse_order_21rocsparse_index_base_b ; -- Begin function _ZN9rocsparseL31bsrmm_large_blockdim_kernel_extILj4ELj16ELj2EllddddEEvb20rocsparse_direction_T3_S2_llNS_24const_host_device_scalarIT7_EEPKT2_PKS2_PKT4_S2_PKT5_llS5_PT6_ll16rocsparse_order_21rocsparse_index_base_b
	.p2align	8
	.type	_ZN9rocsparseL31bsrmm_large_blockdim_kernel_extILj4ELj16ELj2EllddddEEvb20rocsparse_direction_T3_S2_llNS_24const_host_device_scalarIT7_EEPKT2_PKS2_PKT4_S2_PKT5_llS5_PT6_ll16rocsparse_order_21rocsparse_index_base_b,@function
_ZN9rocsparseL31bsrmm_large_blockdim_kernel_extILj4ELj16ELj2EllddddEEvb20rocsparse_direction_T3_S2_llNS_24const_host_device_scalarIT7_EEPKT2_PKS2_PKT4_S2_PKT5_llS5_PT6_ll16rocsparse_order_21rocsparse_index_base_b: ; @_ZN9rocsparseL31bsrmm_large_blockdim_kernel_extILj4ELj16ELj2EllddddEEvb20rocsparse_direction_T3_S2_llNS_24const_host_device_scalarIT7_EEPKT2_PKS2_PKT4_S2_PKT5_llS5_PT6_ll16rocsparse_order_21rocsparse_index_base_b
; %bb.0:
	s_clause 0x2
	s_load_b96 s[16:18], s[0:1], 0x88
	s_load_b64 s[4:5], s[0:1], 0x28
	s_load_b64 s[2:3], s[0:1], 0x68
	s_wait_kmcnt 0x0
	s_bitcmp1_b32 s18, 0
	v_mov_b64_e32 v[4:5], s[4:5]
	s_cselect_b32 s6, -1, 0
	s_delay_alu instid0(SALU_CYCLE_1)
	s_and_b32 vcc_lo, exec_lo, s6
	s_xor_b32 s6, s6, -1
	s_cbranch_vccnz .LBB21_2
; %bb.1:
	v_mov_b32_e32 v1, 0
	flat_load_b64 v[4:5], v1, s[4:5]
.LBB21_2:
	v_mov_b64_e32 v[6:7], s[2:3]
	s_and_not1_b32 vcc_lo, exec_lo, s6
	s_cbranch_vccnz .LBB21_4
; %bb.3:
	s_wait_xcnt 0x0
	v_mov_b32_e32 v1, 0
	flat_load_b64 v[6:7], v1, s[2:3]
.LBB21_4:
	s_wait_loadcnt_dscnt 0x0
	v_cmp_neq_f64_e32 vcc_lo, 0, v[4:5]
	s_delay_alu instid0(VALU_DEP_2) | instskip(SKIP_2) | instid1(SALU_CYCLE_1)
	v_cmp_neq_f64_e64 s2, 1.0, v[6:7]
	s_mov_b64 s[20:21], 0
	s_or_b32 s2, vcc_lo, s2
	s_and_saveexec_b32 s3, s2
	s_cbranch_execz .LBB21_51
; %bb.5:
	s_clause 0x1
	s_load_b128 s[4:7], s[0:1], 0x8
	s_load_b64 s[2:3], s[0:1], 0x30
	s_bfe_u32 s8, ttmp6, 0x4000c
	s_and_b32 s9, ttmp6, 15
	s_add_co_i32 s8, s8, 1
	s_delay_alu instid0(SALU_CYCLE_1) | instskip(SKIP_4) | instid1(SALU_CYCLE_1)
	s_mul_i32 s10, ttmp9, s8
	s_getreg_b32 s8, hwreg(HW_REG_IB_STS2, 6, 4)
	s_add_co_i32 s9, s9, s10
	s_cmp_eq_u32 s8, 0
	s_cselect_b32 s18, ttmp9, s9
	s_ashr_i32 s19, s18, 31
	s_wait_kmcnt 0x0
	v_cmp_le_i64_e64 s9, s[4:5], s[18:19]
	v_cmp_gt_i64_e64 s33, s[4:5], s[18:19]
	s_mov_b32 s5, 0
	s_and_b32 vcc_lo, exec_lo, s9
	s_cbranch_vccnz .LBB21_7
; %bb.6:
	s_lshl_b64 s[10:11], s[18:19], 3
	s_mov_b32 s4, s17
	s_add_nc_u64 s[10:11], s[2:3], s[10:11]
	s_load_b64 s[10:11], s[10:11], 0x0
	s_wait_kmcnt 0x0
	s_sub_nc_u64 s[20:21], s[10:11], s[4:5]
.LBB21_7:
	s_and_not1_b32 vcc_lo, exec_lo, s33
	s_mov_b64 s[26:27], 0
	s_cbranch_vccnz .LBB21_9
; %bb.8:
	s_lshl_b64 s[4:5], s[18:19], 3
	s_delay_alu instid0(SALU_CYCLE_1)
	s_add_nc_u64 s[2:3], s[2:3], s[4:5]
	s_mov_b32 s5, 0
	s_load_b64 s[2:3], s[2:3], 0x8
	s_mov_b32 s4, s17
	s_wait_kmcnt 0x0
	s_sub_nc_u64 s[26:27], s[2:3], s[4:5]
.LBB21_9:
	s_bfe_u32 s2, ttmp6, 0x40010
	s_clause 0x1
	s_load_b64 s[22:23], s[0:1], 0x48
	s_load_b64 s[24:25], s[0:1], 0x70
	s_add_co_i32 s2, s2, 1
	s_bfe_u32 s3, ttmp6, 0x40004
	s_mul_i32 s2, ttmp7, s2
	v_bfe_u32 v18, v0, 10, 10
	s_add_co_i32 s3, s3, s2
	s_cmp_eq_u32 s8, 0
	v_and_b32_e32 v12, 0x3ff, v0
	s_cselect_b32 s2, ttmp7, s3
	v_cmp_ge_i64_e64 s5, s[20:21], s[26:27]
	v_lshl_add_u32 v10, s2, 5, v18
	v_mov_b32_e32 v11, 0
	s_mov_b32 s29, 0
	s_delay_alu instid0(VALU_DEP_1)
	v_dual_mov_b32 v13, v11 :: v_dual_add_nc_u32 v8, 16, v10
	v_mov_b32_e32 v9, v11
	v_cmp_gt_i64_e64 s3, s[6:7], v[10:11]
	s_and_b32 vcc_lo, exec_lo, s5
	s_wait_kmcnt 0x0
	v_cmp_gt_i64_e64 s2, s[22:23], v[12:13]
	v_cmp_gt_i64_e64 s4, s[6:7], v[8:9]
	s_cbranch_vccnz .LBB21_27
; %bb.10:
	v_dual_mov_b32 v19, v11 :: v_dual_lshlrev_b32 v24, 3, v18
	s_load_b128 s[8:11], s[0:1], 0x50
	v_mul_u64_e32 v[20:21], s[22:23], v[12:13]
	s_clause 0x1
	s_load_b128 s[12:15], s[0:1], 0x38
	s_load_b64 s[34:35], s[0:1], 0x0
	v_mul_u64_e32 v[22:23], s[22:23], v[18:19]
	v_cmp_gt_i64_e32 vcc_lo, s[22:23], v[18:19]
	v_dual_mov_b32 v31, v11 :: v_dual_lshlrev_b32 v30, 3, v12
	v_dual_lshlrev_b32 v26, 5, v18 :: v_dual_lshlrev_b32 v32, 5, v12
	v_dual_mov_b32 v25, v11 :: v_dual_mov_b32 v0, v11
	s_and_b32 s19, s2, vcc_lo
	v_cmp_gt_i64_e64 s36, s[22:23], 0
	v_dual_mov_b32 v1, v11 :: v_dual_mov_b32 v2, v11
	v_dual_mov_b32 v3, v11 :: v_dual_add_nc_u32 v28, 0x200, v26
	v_add_nc_u32_e32 v27, 0x400, v32
	s_mul_u64 s[30:31], s[22:23], s[22:23]
	s_wait_kmcnt 0x0
	v_mul_u64_e32 v[14:15], s[10:11], v[10:11]
	v_mul_u64_e32 v[16:17], s[10:11], v[8:9]
	s_mov_b32 s28, s17
	s_bitcmp1_b32 s34, 0
	s_cselect_b32 s5, -1, 0
	s_cmp_eq_u32 s35, 0
	s_cselect_b32 vcc_lo, -1, 0
	s_and_b32 s17, s3, s36
	s_and_b32 s34, s4, s36
	v_lshl_add_u64 v[18:19], v[20:21], 3, s[14:15]
	v_lshl_add_u64 v[20:21], v[22:23], 3, s[14:15]
	s_delay_alu instid0(VALU_DEP_2) | instskip(SKIP_1) | instid1(VALU_DEP_3)
	v_add_nc_u64_e32 v[22:23], v[18:19], v[24:25]
	v_add_nc_u64_e32 v[18:19], s[8:9], v[30:31]
	;; [unrolled: 1-line block ×3, first 2 shown]
	v_add_nc_u32_e32 v33, 0x400, v24
	s_delay_alu instid0(VALU_DEP_2) | instskip(NEXT) | instid1(VALU_DEP_2)
	v_dual_add_nc_u32 v29, v30, v26 :: v_dual_cndmask_b32 v21, v21, v23, vcc_lo
	v_dual_cndmask_b32 v20, v20, v22, vcc_lo :: v_dual_add_nc_u32 v30, v33, v32
	s_branch .LBB21_13
.LBB21_11:                              ;   in Loop: Header=BB21_13 Depth=1
	s_or_b32 exec_lo, exec_lo, s36
.LBB21_12:                              ;   in Loop: Header=BB21_13 Depth=1
	s_delay_alu instid0(SALU_CYCLE_1) | instskip(SKIP_1) | instid1(SALU_CYCLE_1)
	s_or_b32 exec_lo, exec_lo, s35
	s_add_nc_u64 s[20:21], s[20:21], 1
	v_cmp_ge_i64_e64 s14, s[20:21], s[26:27]
	s_barrier_signal -1
	s_barrier_wait -1
	s_and_b32 vcc_lo, exec_lo, s14
	s_cbranch_vccnz .LBB21_28
.LBB21_13:                              ; =>This Loop Header: Depth=1
                                        ;     Child Loop BB21_23 Depth 2
                                        ;     Child Loop BB21_26 Depth 2
	s_and_saveexec_b32 s14, s2
	s_cbranch_execz .LBB21_18
; %bb.14:                               ;   in Loop: Header=BB21_13 Depth=1
	s_lshl_b64 s[36:37], s[20:21], 3
	s_delay_alu instid0(SALU_CYCLE_1) | instskip(SKIP_3) | instid1(SALU_CYCLE_1)
	s_add_nc_u64 s[36:37], s[12:13], s[36:37]
	s_load_b64 s[36:37], s[36:37], 0x0
	s_wait_kmcnt 0x0
	s_sub_nc_u64 s[36:37], s[36:37], s[28:29]
	s_mul_u64 s[36:37], s[36:37], s[22:23]
	s_delay_alu instid0(SALU_CYCLE_1) | instskip(SKIP_1) | instid1(VALU_DEP_2)
	v_add_nc_u64_e32 v[22:23], s[36:37], v[12:13]
	v_lshl_add_u64 v[24:25], s[36:37], 3, v[18:19]
	v_mul_u64_e32 v[22:23], s[10:11], v[22:23]
	s_delay_alu instid0(VALU_DEP_1)
	v_lshl_add_u64 v[22:23], v[22:23], 3, s[8:9]
	s_and_saveexec_b32 s15, s3
	s_cbranch_execz .LBB21_16
; %bb.15:                               ;   in Loop: Header=BB21_13 Depth=1
	s_delay_alu instid0(VALU_DEP_1) | instskip(SKIP_1) | instid1(VALU_DEP_1)
	v_lshl_add_u64 v[32:33], v[10:11], 3, v[22:23]
	v_lshl_add_u64 v[34:35], v[14:15], 3, v[24:25]
	v_dual_cndmask_b32 v33, v33, v35, s5 :: v_dual_cndmask_b32 v32, v32, v34, s5
	global_load_b64 v[32:33], v[32:33], off
	s_wait_loadcnt 0x0
	ds_store_b64 v29, v[32:33]
.LBB21_16:                              ;   in Loop: Header=BB21_13 Depth=1
	s_or_b32 exec_lo, exec_lo, s15
	s_delay_alu instid0(SALU_CYCLE_1)
	s_and_b32 exec_lo, exec_lo, s4
	s_cbranch_execz .LBB21_18
; %bb.17:                               ;   in Loop: Header=BB21_13 Depth=1
	v_lshl_add_u64 v[24:25], v[16:17], 3, v[24:25]
	v_lshl_add_u64 v[22:23], v[8:9], 3, v[22:23]
	s_delay_alu instid0(VALU_DEP_1)
	v_dual_cndmask_b32 v23, v23, v25, s5 :: v_dual_cndmask_b32 v22, v22, v24, s5
	global_load_b64 v[22:23], v[22:23], off
	s_wait_loadcnt 0x0
	ds_store_b64 v29, v[22:23] offset:512
.LBB21_18:                              ;   in Loop: Header=BB21_13 Depth=1
	s_or_b32 exec_lo, exec_lo, s14
	s_and_saveexec_b32 s14, s19
	s_cbranch_execz .LBB21_20
; %bb.19:                               ;   in Loop: Header=BB21_13 Depth=1
	s_mul_u64 s[36:37], s[30:31], s[20:21]
	s_delay_alu instid0(SALU_CYCLE_1)
	v_lshl_add_u64 v[22:23], s[36:37], 3, v[20:21]
	global_load_b64 v[22:23], v[22:23], off
	s_wait_loadcnt 0x0
	ds_store_b64 v30, v[22:23]
.LBB21_20:                              ;   in Loop: Header=BB21_13 Depth=1
	s_or_b32 exec_lo, exec_lo, s14
	s_wait_dscnt 0x0
	s_barrier_signal -1
	s_barrier_wait -1
	s_and_saveexec_b32 s35, s2
	s_cbranch_execz .LBB21_12
; %bb.21:                               ;   in Loop: Header=BB21_13 Depth=1
	s_and_saveexec_b32 s36, s17
	s_cbranch_execz .LBB21_24
; %bb.22:                               ;   in Loop: Header=BB21_13 Depth=1
	v_dual_mov_b32 v22, v27 :: v_dual_mov_b32 v23, v26
	s_mov_b64 s[14:15], s[22:23]
.LBB21_23:                              ;   Parent Loop BB21_13 Depth=1
                                        ; =>  This Inner Loop Header: Depth=2
	ds_load_b64 v[24:25], v22
	ds_load_b64 v[32:33], v23
	v_dual_add_nc_u32 v23, 8, v23 :: v_dual_add_nc_u32 v22, 8, v22
	s_add_nc_u64 s[14:15], s[14:15], -1
	s_delay_alu instid0(SALU_CYCLE_1)
	s_cmp_lg_u64 s[14:15], 0
	s_wait_dscnt 0x0
	v_fmac_f64_e32 v[0:1], v[24:25], v[32:33]
	s_cbranch_scc1 .LBB21_23
.LBB21_24:                              ;   in Loop: Header=BB21_13 Depth=1
	s_or_b32 exec_lo, exec_lo, s36
	s_and_saveexec_b32 s36, s34
	s_cbranch_execz .LBB21_11
; %bb.25:                               ;   in Loop: Header=BB21_13 Depth=1
	v_dual_mov_b32 v22, v27 :: v_dual_mov_b32 v23, v28
	s_mov_b64 s[14:15], s[22:23]
.LBB21_26:                              ;   Parent Loop BB21_13 Depth=1
                                        ; =>  This Inner Loop Header: Depth=2
	ds_load_b64 v[24:25], v22
	ds_load_b64 v[32:33], v23
	v_dual_add_nc_u32 v23, 8, v23 :: v_dual_add_nc_u32 v22, 8, v22
	s_add_nc_u64 s[14:15], s[14:15], -1
	s_delay_alu instid0(SALU_CYCLE_1)
	s_cmp_lg_u64 s[14:15], 0
	s_wait_dscnt 0x0
	v_fmac_f64_e32 v[2:3], v[24:25], v[32:33]
	s_cbranch_scc1 .LBB21_26
	s_branch .LBB21_11
.LBB21_27:
	v_dual_mov_b32 v0, v11 :: v_dual_mov_b32 v1, v11
	v_dual_mov_b32 v2, v11 :: v_dual_mov_b32 v3, v11
.LBB21_28:
	s_and_b32 s2, s33, s2
	s_delay_alu instid0(SALU_CYCLE_1)
	s_and_b32 exec_lo, exec_lo, s2
	s_cbranch_execz .LBB21_51
; %bb.29:
	v_mad_nc_u64_u32 v[12:13], s22, s18, v[12:13]
	s_load_b64 s[2:3], s[0:1], 0x78
	s_wait_xcnt 0x0
	v_cmp_neq_f64_e64 s0, 0, v[6:7]
	s_cmp_lg_u32 s16, 1
	s_mov_b32 s4, exec_lo
	s_cselect_b32 s1, -1, 0
	v_mad_u32 v13, s23, s18, v13
	s_wait_kmcnt 0x0
	s_delay_alu instid0(VALU_DEP_1) | instskip(SKIP_1) | instid1(VALU_DEP_2)
	v_mul_u64_e32 v[14:15], s[2:3], v[12:13]
	v_lshl_add_u64 v[12:13], v[12:13], 3, s[24:25]
	v_lshl_add_u64 v[14:15], v[14:15], 3, s[24:25]
	v_cmpx_gt_i64_e64 s[6:7], v[10:11]
	s_cbranch_execz .LBB21_40
; %bb.30:
	s_and_saveexec_b32 s5, s0
	s_delay_alu instid0(SALU_CYCLE_1)
	s_xor_b32 s5, exec_lo, s5
	s_cbranch_execz .LBB21_35
; %bb.31:
	s_and_b32 vcc_lo, exec_lo, s1
	s_mov_b32 s8, -1
	s_cbranch_vccz .LBB21_33
; %bb.32:
	v_lshl_add_u64 v[16:17], v[10:11], 3, v[14:15]
	v_mul_f64_e32 v[20:21], v[4:5], v[0:1]
	s_mov_b32 s8, 0
	global_load_b64 v[18:19], v[16:17], off
	s_wait_loadcnt 0x0
	v_fmac_f64_e32 v[20:21], v[6:7], v[18:19]
	global_store_b64 v[16:17], v[20:21], off
.LBB21_33:
	s_and_not1_b32 vcc_lo, exec_lo, s8
	s_cbranch_vccnz .LBB21_35
; %bb.34:
	v_mul_u64_e32 v[10:11], s[2:3], v[10:11]
	v_mul_f64_e32 v[18:19], v[4:5], v[0:1]
	s_delay_alu instid0(VALU_DEP_2)
	v_lshl_add_u64 v[10:11], v[10:11], 3, v[12:13]
	global_load_b64 v[16:17], v[10:11], off
	s_wait_loadcnt 0x0
	v_fmac_f64_e32 v[18:19], v[6:7], v[16:17]
	global_store_b64 v[10:11], v[18:19], off
                                        ; implicit-def: $vgpr10_vgpr11
.LBB21_35:
	s_wait_xcnt 0x0
	s_and_not1_saveexec_b32 s5, s5
	s_cbranch_execz .LBB21_40
; %bb.36:
	v_mul_f64_e32 v[0:1], v[4:5], v[0:1]
	s_and_b32 vcc_lo, exec_lo, s1
	s_mov_b32 s5, -1
	s_cbranch_vccz .LBB21_38
; %bb.37:
	v_lshl_add_u64 v[16:17], v[10:11], 3, v[14:15]
	s_mov_b32 s5, 0
	global_store_b64 v[16:17], v[0:1], off
.LBB21_38:
	s_and_not1_b32 vcc_lo, exec_lo, s5
	s_cbranch_vccnz .LBB21_40
; %bb.39:
	v_mul_u64_e32 v[10:11], s[2:3], v[10:11]
	s_delay_alu instid0(VALU_DEP_1)
	v_lshl_add_u64 v[10:11], v[10:11], 3, v[12:13]
	global_store_b64 v[10:11], v[0:1], off
.LBB21_40:
	s_wait_xcnt 0x0
	s_or_b32 exec_lo, exec_lo, s4
	v_cmp_gt_i64_e32 vcc_lo, s[6:7], v[8:9]
	s_and_b32 exec_lo, exec_lo, vcc_lo
	s_cbranch_execz .LBB21_51
; %bb.41:
	v_cndmask_b32_e64 v10, 0, 1, s1
	s_and_saveexec_b32 s1, s0
	s_delay_alu instid0(SALU_CYCLE_1)
	s_xor_b32 s0, exec_lo, s1
	s_cbranch_execz .LBB21_46
; %bb.42:
	s_delay_alu instid0(VALU_DEP_1)
	v_cmp_ne_u32_e32 vcc_lo, 1, v10
	s_mov_b32 s1, -1
	s_cbranch_vccnz .LBB21_44
; %bb.43:
	v_lshl_add_u64 v[0:1], v[8:9], 3, v[14:15]
	v_mul_f64_e32 v[14:15], v[4:5], v[2:3]
	s_mov_b32 s1, 0
	global_load_b64 v[10:11], v[0:1], off
	s_wait_loadcnt 0x0
	v_fmac_f64_e32 v[14:15], v[6:7], v[10:11]
	global_store_b64 v[0:1], v[14:15], off
.LBB21_44:
	s_and_not1_b32 vcc_lo, exec_lo, s1
                                        ; implicit-def: $vgpr10
                                        ; implicit-def: $vgpr14_vgpr15
	s_cbranch_vccnz .LBB21_46
; %bb.45:
	s_wait_xcnt 0x0
	v_mul_u64_e32 v[0:1], s[2:3], v[8:9]
	v_mul_f64_e32 v[2:3], v[4:5], v[2:3]
                                        ; implicit-def: $vgpr4_vgpr5
                                        ; implicit-def: $vgpr10
                                        ; implicit-def: $vgpr14_vgpr15
	s_delay_alu instid0(VALU_DEP_2)
	v_lshl_add_u64 v[0:1], v[0:1], 3, v[12:13]
                                        ; implicit-def: $vgpr12_vgpr13
	global_load_b64 v[8:9], v[0:1], off
	s_wait_loadcnt 0x0
	v_fmac_f64_e32 v[2:3], v[6:7], v[8:9]
                                        ; implicit-def: $vgpr8_vgpr9
	global_store_b64 v[0:1], v[2:3], off
                                        ; implicit-def: $vgpr0_vgpr1_vgpr2_vgpr3
.LBB21_46:
	s_wait_xcnt 0x0
	s_and_not1_saveexec_b32 s0, s0
	s_cbranch_execz .LBB21_51
; %bb.47:
	v_mul_f64_e32 v[0:1], v[4:5], v[2:3]
	v_cmp_ne_u32_e32 vcc_lo, 1, v10
	s_mov_b32 s0, -1
	s_cbranch_vccnz .LBB21_49
; %bb.48:
	v_lshl_add_u64 v[2:3], v[8:9], 3, v[14:15]
	s_mov_b32 s0, 0
	global_store_b64 v[2:3], v[0:1], off
.LBB21_49:
	s_and_not1_b32 vcc_lo, exec_lo, s0
	s_cbranch_vccnz .LBB21_51
; %bb.50:
	s_wait_xcnt 0x0
	v_mul_u64_e32 v[2:3], s[2:3], v[8:9]
	s_delay_alu instid0(VALU_DEP_1)
	v_lshl_add_u64 v[2:3], v[2:3], 3, v[12:13]
	global_store_b64 v[2:3], v[0:1], off
.LBB21_51:
	s_endpgm
	.section	.rodata,"a",@progbits
	.p2align	6, 0x0
	.amdhsa_kernel _ZN9rocsparseL31bsrmm_large_blockdim_kernel_extILj4ELj16ELj2EllddddEEvb20rocsparse_direction_T3_S2_llNS_24const_host_device_scalarIT7_EEPKT2_PKS2_PKT4_S2_PKT5_llS5_PT6_ll16rocsparse_order_21rocsparse_index_base_b
		.amdhsa_group_segment_fixed_size 1152
		.amdhsa_private_segment_fixed_size 0
		.amdhsa_kernarg_size 148
		.amdhsa_user_sgpr_count 2
		.amdhsa_user_sgpr_dispatch_ptr 0
		.amdhsa_user_sgpr_queue_ptr 0
		.amdhsa_user_sgpr_kernarg_segment_ptr 1
		.amdhsa_user_sgpr_dispatch_id 0
		.amdhsa_user_sgpr_kernarg_preload_length 0
		.amdhsa_user_sgpr_kernarg_preload_offset 0
		.amdhsa_user_sgpr_private_segment_size 0
		.amdhsa_wavefront_size32 1
		.amdhsa_uses_dynamic_stack 0
		.amdhsa_enable_private_segment 0
		.amdhsa_system_sgpr_workgroup_id_x 1
		.amdhsa_system_sgpr_workgroup_id_y 1
		.amdhsa_system_sgpr_workgroup_id_z 0
		.amdhsa_system_sgpr_workgroup_info 0
		.amdhsa_system_vgpr_workitem_id 1
		.amdhsa_next_free_vgpr 36
		.amdhsa_next_free_sgpr 38
		.amdhsa_named_barrier_count 0
		.amdhsa_reserve_vcc 1
		.amdhsa_float_round_mode_32 0
		.amdhsa_float_round_mode_16_64 0
		.amdhsa_float_denorm_mode_32 3
		.amdhsa_float_denorm_mode_16_64 3
		.amdhsa_fp16_overflow 0
		.amdhsa_memory_ordered 1
		.amdhsa_forward_progress 1
		.amdhsa_inst_pref_size 14
		.amdhsa_round_robin_scheduling 0
		.amdhsa_exception_fp_ieee_invalid_op 0
		.amdhsa_exception_fp_denorm_src 0
		.amdhsa_exception_fp_ieee_div_zero 0
		.amdhsa_exception_fp_ieee_overflow 0
		.amdhsa_exception_fp_ieee_underflow 0
		.amdhsa_exception_fp_ieee_inexact 0
		.amdhsa_exception_int_div_zero 0
	.end_amdhsa_kernel
	.section	.text._ZN9rocsparseL31bsrmm_large_blockdim_kernel_extILj4ELj16ELj2EllddddEEvb20rocsparse_direction_T3_S2_llNS_24const_host_device_scalarIT7_EEPKT2_PKS2_PKT4_S2_PKT5_llS5_PT6_ll16rocsparse_order_21rocsparse_index_base_b,"axG",@progbits,_ZN9rocsparseL31bsrmm_large_blockdim_kernel_extILj4ELj16ELj2EllddddEEvb20rocsparse_direction_T3_S2_llNS_24const_host_device_scalarIT7_EEPKT2_PKS2_PKT4_S2_PKT5_llS5_PT6_ll16rocsparse_order_21rocsparse_index_base_b,comdat
.Lfunc_end21:
	.size	_ZN9rocsparseL31bsrmm_large_blockdim_kernel_extILj4ELj16ELj2EllddddEEvb20rocsparse_direction_T3_S2_llNS_24const_host_device_scalarIT7_EEPKT2_PKS2_PKT4_S2_PKT5_llS5_PT6_ll16rocsparse_order_21rocsparse_index_base_b, .Lfunc_end21-_ZN9rocsparseL31bsrmm_large_blockdim_kernel_extILj4ELj16ELj2EllddddEEvb20rocsparse_direction_T3_S2_llNS_24const_host_device_scalarIT7_EEPKT2_PKS2_PKT4_S2_PKT5_llS5_PT6_ll16rocsparse_order_21rocsparse_index_base_b
                                        ; -- End function
	.set _ZN9rocsparseL31bsrmm_large_blockdim_kernel_extILj4ELj16ELj2EllddddEEvb20rocsparse_direction_T3_S2_llNS_24const_host_device_scalarIT7_EEPKT2_PKS2_PKT4_S2_PKT5_llS5_PT6_ll16rocsparse_order_21rocsparse_index_base_b.num_vgpr, 36
	.set _ZN9rocsparseL31bsrmm_large_blockdim_kernel_extILj4ELj16ELj2EllddddEEvb20rocsparse_direction_T3_S2_llNS_24const_host_device_scalarIT7_EEPKT2_PKS2_PKT4_S2_PKT5_llS5_PT6_ll16rocsparse_order_21rocsparse_index_base_b.num_agpr, 0
	.set _ZN9rocsparseL31bsrmm_large_blockdim_kernel_extILj4ELj16ELj2EllddddEEvb20rocsparse_direction_T3_S2_llNS_24const_host_device_scalarIT7_EEPKT2_PKS2_PKT4_S2_PKT5_llS5_PT6_ll16rocsparse_order_21rocsparse_index_base_b.numbered_sgpr, 38
	.set _ZN9rocsparseL31bsrmm_large_blockdim_kernel_extILj4ELj16ELj2EllddddEEvb20rocsparse_direction_T3_S2_llNS_24const_host_device_scalarIT7_EEPKT2_PKS2_PKT4_S2_PKT5_llS5_PT6_ll16rocsparse_order_21rocsparse_index_base_b.num_named_barrier, 0
	.set _ZN9rocsparseL31bsrmm_large_blockdim_kernel_extILj4ELj16ELj2EllddddEEvb20rocsparse_direction_T3_S2_llNS_24const_host_device_scalarIT7_EEPKT2_PKS2_PKT4_S2_PKT5_llS5_PT6_ll16rocsparse_order_21rocsparse_index_base_b.private_seg_size, 0
	.set _ZN9rocsparseL31bsrmm_large_blockdim_kernel_extILj4ELj16ELj2EllddddEEvb20rocsparse_direction_T3_S2_llNS_24const_host_device_scalarIT7_EEPKT2_PKS2_PKT4_S2_PKT5_llS5_PT6_ll16rocsparse_order_21rocsparse_index_base_b.uses_vcc, 1
	.set _ZN9rocsparseL31bsrmm_large_blockdim_kernel_extILj4ELj16ELj2EllddddEEvb20rocsparse_direction_T3_S2_llNS_24const_host_device_scalarIT7_EEPKT2_PKS2_PKT4_S2_PKT5_llS5_PT6_ll16rocsparse_order_21rocsparse_index_base_b.uses_flat_scratch, 0
	.set _ZN9rocsparseL31bsrmm_large_blockdim_kernel_extILj4ELj16ELj2EllddddEEvb20rocsparse_direction_T3_S2_llNS_24const_host_device_scalarIT7_EEPKT2_PKS2_PKT4_S2_PKT5_llS5_PT6_ll16rocsparse_order_21rocsparse_index_base_b.has_dyn_sized_stack, 0
	.set _ZN9rocsparseL31bsrmm_large_blockdim_kernel_extILj4ELj16ELj2EllddddEEvb20rocsparse_direction_T3_S2_llNS_24const_host_device_scalarIT7_EEPKT2_PKS2_PKT4_S2_PKT5_llS5_PT6_ll16rocsparse_order_21rocsparse_index_base_b.has_recursion, 0
	.set _ZN9rocsparseL31bsrmm_large_blockdim_kernel_extILj4ELj16ELj2EllddddEEvb20rocsparse_direction_T3_S2_llNS_24const_host_device_scalarIT7_EEPKT2_PKS2_PKT4_S2_PKT5_llS5_PT6_ll16rocsparse_order_21rocsparse_index_base_b.has_indirect_call, 0
	.section	.AMDGPU.csdata,"",@progbits
; Kernel info:
; codeLenInByte = 1784
; TotalNumSgprs: 40
; NumVgprs: 36
; ScratchSize: 0
; MemoryBound: 0
; FloatMode: 240
; IeeeMode: 1
; LDSByteSize: 1152 bytes/workgroup (compile time only)
; SGPRBlocks: 0
; VGPRBlocks: 2
; NumSGPRsForWavesPerEU: 40
; NumVGPRsForWavesPerEU: 36
; NamedBarCnt: 0
; Occupancy: 16
; WaveLimiterHint : 1
; COMPUTE_PGM_RSRC2:SCRATCH_EN: 0
; COMPUTE_PGM_RSRC2:USER_SGPR: 2
; COMPUTE_PGM_RSRC2:TRAP_HANDLER: 0
; COMPUTE_PGM_RSRC2:TGID_X_EN: 1
; COMPUTE_PGM_RSRC2:TGID_Y_EN: 1
; COMPUTE_PGM_RSRC2:TGID_Z_EN: 0
; COMPUTE_PGM_RSRC2:TIDIG_COMP_CNT: 1
	.section	.text._ZN9rocsparseL31bsrmm_large_blockdim_kernel_extILj16ELj16ELj2EllddddEEvb20rocsparse_direction_T3_S2_llNS_24const_host_device_scalarIT7_EEPKT2_PKS2_PKT4_S2_PKT5_llS5_PT6_ll16rocsparse_order_21rocsparse_index_base_b,"axG",@progbits,_ZN9rocsparseL31bsrmm_large_blockdim_kernel_extILj16ELj16ELj2EllddddEEvb20rocsparse_direction_T3_S2_llNS_24const_host_device_scalarIT7_EEPKT2_PKS2_PKT4_S2_PKT5_llS5_PT6_ll16rocsparse_order_21rocsparse_index_base_b,comdat
	.globl	_ZN9rocsparseL31bsrmm_large_blockdim_kernel_extILj16ELj16ELj2EllddddEEvb20rocsparse_direction_T3_S2_llNS_24const_host_device_scalarIT7_EEPKT2_PKS2_PKT4_S2_PKT5_llS5_PT6_ll16rocsparse_order_21rocsparse_index_base_b ; -- Begin function _ZN9rocsparseL31bsrmm_large_blockdim_kernel_extILj16ELj16ELj2EllddddEEvb20rocsparse_direction_T3_S2_llNS_24const_host_device_scalarIT7_EEPKT2_PKS2_PKT4_S2_PKT5_llS5_PT6_ll16rocsparse_order_21rocsparse_index_base_b
	.p2align	8
	.type	_ZN9rocsparseL31bsrmm_large_blockdim_kernel_extILj16ELj16ELj2EllddddEEvb20rocsparse_direction_T3_S2_llNS_24const_host_device_scalarIT7_EEPKT2_PKS2_PKT4_S2_PKT5_llS5_PT6_ll16rocsparse_order_21rocsparse_index_base_b,@function
_ZN9rocsparseL31bsrmm_large_blockdim_kernel_extILj16ELj16ELj2EllddddEEvb20rocsparse_direction_T3_S2_llNS_24const_host_device_scalarIT7_EEPKT2_PKS2_PKT4_S2_PKT5_llS5_PT6_ll16rocsparse_order_21rocsparse_index_base_b: ; @_ZN9rocsparseL31bsrmm_large_blockdim_kernel_extILj16ELj16ELj2EllddddEEvb20rocsparse_direction_T3_S2_llNS_24const_host_device_scalarIT7_EEPKT2_PKS2_PKT4_S2_PKT5_llS5_PT6_ll16rocsparse_order_21rocsparse_index_base_b
; %bb.0:
	s_clause 0x2
	s_load_b96 s[16:18], s[0:1], 0x88
	s_load_b64 s[4:5], s[0:1], 0x28
	s_load_b64 s[2:3], s[0:1], 0x68
	s_wait_kmcnt 0x0
	s_bitcmp1_b32 s18, 0
	v_mov_b64_e32 v[4:5], s[4:5]
	s_cselect_b32 s6, -1, 0
	s_delay_alu instid0(SALU_CYCLE_1)
	s_and_b32 vcc_lo, exec_lo, s6
	s_xor_b32 s6, s6, -1
	s_cbranch_vccnz .LBB22_2
; %bb.1:
	v_mov_b32_e32 v1, 0
	flat_load_b64 v[4:5], v1, s[4:5]
.LBB22_2:
	v_mov_b64_e32 v[6:7], s[2:3]
	s_and_not1_b32 vcc_lo, exec_lo, s6
	s_cbranch_vccnz .LBB22_4
; %bb.3:
	s_wait_xcnt 0x0
	v_mov_b32_e32 v1, 0
	flat_load_b64 v[6:7], v1, s[2:3]
.LBB22_4:
	s_wait_loadcnt_dscnt 0x0
	v_cmp_neq_f64_e32 vcc_lo, 0, v[4:5]
	s_delay_alu instid0(VALU_DEP_2) | instskip(SKIP_2) | instid1(SALU_CYCLE_1)
	v_cmp_neq_f64_e64 s2, 1.0, v[6:7]
	s_mov_b64 s[20:21], 0
	s_or_b32 s2, vcc_lo, s2
	s_and_saveexec_b32 s3, s2
	s_cbranch_execz .LBB22_51
; %bb.5:
	s_clause 0x1
	s_load_b128 s[4:7], s[0:1], 0x8
	s_load_b64 s[2:3], s[0:1], 0x30
	s_bfe_u32 s8, ttmp6, 0x4000c
	s_and_b32 s9, ttmp6, 15
	s_add_co_i32 s8, s8, 1
	s_delay_alu instid0(SALU_CYCLE_1) | instskip(SKIP_4) | instid1(SALU_CYCLE_1)
	s_mul_i32 s10, ttmp9, s8
	s_getreg_b32 s8, hwreg(HW_REG_IB_STS2, 6, 4)
	s_add_co_i32 s9, s9, s10
	s_cmp_eq_u32 s8, 0
	s_cselect_b32 s18, ttmp9, s9
	s_ashr_i32 s19, s18, 31
	s_wait_kmcnt 0x0
	v_cmp_le_i64_e64 s9, s[4:5], s[18:19]
	v_cmp_gt_i64_e64 s33, s[4:5], s[18:19]
	s_mov_b32 s5, 0
	s_and_b32 vcc_lo, exec_lo, s9
	s_cbranch_vccnz .LBB22_7
; %bb.6:
	s_lshl_b64 s[10:11], s[18:19], 3
	s_mov_b32 s4, s17
	s_add_nc_u64 s[10:11], s[2:3], s[10:11]
	s_load_b64 s[10:11], s[10:11], 0x0
	s_wait_kmcnt 0x0
	s_sub_nc_u64 s[20:21], s[10:11], s[4:5]
.LBB22_7:
	s_and_not1_b32 vcc_lo, exec_lo, s33
	s_mov_b64 s[26:27], 0
	s_cbranch_vccnz .LBB22_9
; %bb.8:
	s_lshl_b64 s[4:5], s[18:19], 3
	s_delay_alu instid0(SALU_CYCLE_1)
	s_add_nc_u64 s[2:3], s[2:3], s[4:5]
	s_mov_b32 s5, 0
	s_load_b64 s[2:3], s[2:3], 0x8
	s_mov_b32 s4, s17
	s_wait_kmcnt 0x0
	s_sub_nc_u64 s[26:27], s[2:3], s[4:5]
.LBB22_9:
	s_bfe_u32 s2, ttmp6, 0x40010
	s_clause 0x1
	s_load_b64 s[22:23], s[0:1], 0x48
	s_load_b64 s[24:25], s[0:1], 0x70
	s_add_co_i32 s2, s2, 1
	s_bfe_u32 s3, ttmp6, 0x40004
	s_mul_i32 s2, ttmp7, s2
	v_bfe_u32 v18, v0, 10, 10
	s_add_co_i32 s3, s3, s2
	s_cmp_eq_u32 s8, 0
	v_and_b32_e32 v12, 0x3ff, v0
	s_cselect_b32 s2, ttmp7, s3
	v_cmp_ge_i64_e64 s5, s[20:21], s[26:27]
	v_lshl_add_u32 v10, s2, 5, v18
	v_mov_b32_e32 v11, 0
	s_mov_b32 s29, 0
	s_delay_alu instid0(VALU_DEP_1)
	v_dual_mov_b32 v13, v11 :: v_dual_add_nc_u32 v8, 16, v10
	v_mov_b32_e32 v9, v11
	v_cmp_gt_i64_e64 s3, s[6:7], v[10:11]
	s_and_b32 vcc_lo, exec_lo, s5
	s_wait_kmcnt 0x0
	v_cmp_gt_i64_e64 s2, s[22:23], v[12:13]
	v_cmp_gt_i64_e64 s4, s[6:7], v[8:9]
	s_cbranch_vccnz .LBB22_27
; %bb.10:
	v_dual_mov_b32 v19, v11 :: v_dual_lshlrev_b32 v24, 3, v18
	s_load_b128 s[8:11], s[0:1], 0x50
	v_mul_u64_e32 v[20:21], s[22:23], v[12:13]
	s_clause 0x1
	s_load_b128 s[12:15], s[0:1], 0x38
	s_load_b64 s[34:35], s[0:1], 0x0
	v_mul_u64_e32 v[22:23], s[22:23], v[18:19]
	v_cmp_gt_i64_e32 vcc_lo, s[22:23], v[18:19]
	v_dual_mov_b32 v31, v11 :: v_dual_lshlrev_b32 v30, 3, v12
	v_dual_lshlrev_b32 v26, 7, v18 :: v_dual_lshlrev_b32 v29, 7, v12
	v_dual_mov_b32 v25, v11 :: v_dual_mov_b32 v0, v11
	s_and_b32 s19, s2, vcc_lo
	v_dual_mov_b32 v3, v11 :: v_dual_add_nc_u32 v32, 0x1000, v24
	v_cmp_gt_i64_e64 s36, s[22:23], 0
	v_dual_mov_b32 v1, v11 :: v_dual_mov_b32 v2, v11
	s_mul_u64 s[30:31], s[22:23], s[22:23]
	s_mov_b32 s28, s17
	s_wait_kmcnt 0x0
	v_mul_u64_e32 v[14:15], s[10:11], v[10:11]
	v_mul_u64_e32 v[16:17], s[10:11], v[8:9]
	s_bitcmp1_b32 s34, 0
	s_cselect_b32 s5, -1, 0
	s_cmp_eq_u32 s35, 0
	s_cselect_b32 vcc_lo, -1, 0
	s_and_b32 s17, s3, s36
	s_and_b32 s34, s4, s36
	v_lshl_add_u64 v[18:19], v[20:21], 3, s[14:15]
	v_lshl_add_u64 v[20:21], v[22:23], 3, s[14:15]
	s_delay_alu instid0(VALU_DEP_2) | instskip(SKIP_1) | instid1(VALU_DEP_3)
	v_add_nc_u64_e32 v[22:23], v[18:19], v[24:25]
	v_add_nc_u64_e32 v[18:19], s[8:9], v[30:31]
	;; [unrolled: 1-line block ×3, first 2 shown]
	v_add_nc_u32_e32 v27, 0x1000, v29
	v_add_nc_u32_e32 v28, 0x800, v26
	v_dual_add_nc_u32 v29, v32, v29 :: v_dual_add_nc_u32 v30, v30, v26
	s_delay_alu instid0(VALU_DEP_4)
	v_dual_cndmask_b32 v21, v21, v23 :: v_dual_cndmask_b32 v20, v20, v22
	s_branch .LBB22_13
.LBB22_11:                              ;   in Loop: Header=BB22_13 Depth=1
	s_or_b32 exec_lo, exec_lo, s36
.LBB22_12:                              ;   in Loop: Header=BB22_13 Depth=1
	s_delay_alu instid0(SALU_CYCLE_1) | instskip(SKIP_1) | instid1(SALU_CYCLE_1)
	s_or_b32 exec_lo, exec_lo, s35
	s_add_nc_u64 s[20:21], s[20:21], 1
	v_cmp_ge_i64_e64 s14, s[20:21], s[26:27]
	s_barrier_signal -1
	s_barrier_wait -1
	s_and_b32 vcc_lo, exec_lo, s14
	s_cbranch_vccnz .LBB22_28
.LBB22_13:                              ; =>This Loop Header: Depth=1
                                        ;     Child Loop BB22_23 Depth 2
                                        ;     Child Loop BB22_26 Depth 2
	s_and_saveexec_b32 s14, s2
	s_cbranch_execz .LBB22_18
; %bb.14:                               ;   in Loop: Header=BB22_13 Depth=1
	s_lshl_b64 s[36:37], s[20:21], 3
	s_delay_alu instid0(SALU_CYCLE_1) | instskip(SKIP_3) | instid1(SALU_CYCLE_1)
	s_add_nc_u64 s[36:37], s[12:13], s[36:37]
	s_load_b64 s[36:37], s[36:37], 0x0
	s_wait_kmcnt 0x0
	s_sub_nc_u64 s[36:37], s[36:37], s[28:29]
	s_mul_u64 s[36:37], s[36:37], s[22:23]
	s_delay_alu instid0(SALU_CYCLE_1) | instskip(SKIP_1) | instid1(VALU_DEP_2)
	v_add_nc_u64_e32 v[22:23], s[36:37], v[12:13]
	v_lshl_add_u64 v[24:25], s[36:37], 3, v[18:19]
	v_mul_u64_e32 v[22:23], s[10:11], v[22:23]
	s_delay_alu instid0(VALU_DEP_1)
	v_lshl_add_u64 v[22:23], v[22:23], 3, s[8:9]
	s_and_saveexec_b32 s15, s3
	s_cbranch_execz .LBB22_16
; %bb.15:                               ;   in Loop: Header=BB22_13 Depth=1
	s_delay_alu instid0(VALU_DEP_1) | instskip(SKIP_1) | instid1(VALU_DEP_1)
	v_lshl_add_u64 v[32:33], v[10:11], 3, v[22:23]
	v_lshl_add_u64 v[34:35], v[14:15], 3, v[24:25]
	v_dual_cndmask_b32 v33, v33, v35, s5 :: v_dual_cndmask_b32 v32, v32, v34, s5
	global_load_b64 v[32:33], v[32:33], off
	s_wait_loadcnt 0x0
	ds_store_b64 v30, v[32:33]
.LBB22_16:                              ;   in Loop: Header=BB22_13 Depth=1
	s_or_b32 exec_lo, exec_lo, s15
	s_delay_alu instid0(SALU_CYCLE_1)
	s_and_b32 exec_lo, exec_lo, s4
	s_cbranch_execz .LBB22_18
; %bb.17:                               ;   in Loop: Header=BB22_13 Depth=1
	v_lshl_add_u64 v[24:25], v[16:17], 3, v[24:25]
	v_lshl_add_u64 v[22:23], v[8:9], 3, v[22:23]
	s_delay_alu instid0(VALU_DEP_1)
	v_dual_cndmask_b32 v23, v23, v25, s5 :: v_dual_cndmask_b32 v22, v22, v24, s5
	global_load_b64 v[22:23], v[22:23], off
	s_wait_loadcnt 0x0
	ds_store_b64 v30, v[22:23] offset:2048
.LBB22_18:                              ;   in Loop: Header=BB22_13 Depth=1
	s_or_b32 exec_lo, exec_lo, s14
	s_and_saveexec_b32 s14, s19
	s_cbranch_execz .LBB22_20
; %bb.19:                               ;   in Loop: Header=BB22_13 Depth=1
	s_mul_u64 s[36:37], s[30:31], s[20:21]
	s_delay_alu instid0(SALU_CYCLE_1)
	v_lshl_add_u64 v[22:23], s[36:37], 3, v[20:21]
	global_load_b64 v[22:23], v[22:23], off
	s_wait_loadcnt 0x0
	ds_store_b64 v29, v[22:23]
.LBB22_20:                              ;   in Loop: Header=BB22_13 Depth=1
	s_or_b32 exec_lo, exec_lo, s14
	s_wait_dscnt 0x0
	s_barrier_signal -1
	s_barrier_wait -1
	s_and_saveexec_b32 s35, s2
	s_cbranch_execz .LBB22_12
; %bb.21:                               ;   in Loop: Header=BB22_13 Depth=1
	s_and_saveexec_b32 s36, s17
	s_cbranch_execz .LBB22_24
; %bb.22:                               ;   in Loop: Header=BB22_13 Depth=1
	v_dual_mov_b32 v22, v27 :: v_dual_mov_b32 v23, v26
	s_mov_b64 s[14:15], s[22:23]
.LBB22_23:                              ;   Parent Loop BB22_13 Depth=1
                                        ; =>  This Inner Loop Header: Depth=2
	ds_load_b64 v[24:25], v22
	ds_load_b64 v[32:33], v23
	v_dual_add_nc_u32 v23, 8, v23 :: v_dual_add_nc_u32 v22, 8, v22
	s_add_nc_u64 s[14:15], s[14:15], -1
	s_delay_alu instid0(SALU_CYCLE_1)
	s_cmp_lg_u64 s[14:15], 0
	s_wait_dscnt 0x0
	v_fmac_f64_e32 v[0:1], v[24:25], v[32:33]
	s_cbranch_scc1 .LBB22_23
.LBB22_24:                              ;   in Loop: Header=BB22_13 Depth=1
	s_or_b32 exec_lo, exec_lo, s36
	s_and_saveexec_b32 s36, s34
	s_cbranch_execz .LBB22_11
; %bb.25:                               ;   in Loop: Header=BB22_13 Depth=1
	v_dual_mov_b32 v22, v27 :: v_dual_mov_b32 v23, v28
	s_mov_b64 s[14:15], s[22:23]
.LBB22_26:                              ;   Parent Loop BB22_13 Depth=1
                                        ; =>  This Inner Loop Header: Depth=2
	ds_load_b64 v[24:25], v22
	ds_load_b64 v[32:33], v23
	v_dual_add_nc_u32 v23, 8, v23 :: v_dual_add_nc_u32 v22, 8, v22
	s_add_nc_u64 s[14:15], s[14:15], -1
	s_delay_alu instid0(SALU_CYCLE_1)
	s_cmp_lg_u64 s[14:15], 0
	s_wait_dscnt 0x0
	v_fmac_f64_e32 v[2:3], v[24:25], v[32:33]
	s_cbranch_scc1 .LBB22_26
	s_branch .LBB22_11
.LBB22_27:
	v_dual_mov_b32 v0, v11 :: v_dual_mov_b32 v1, v11
	v_dual_mov_b32 v2, v11 :: v_dual_mov_b32 v3, v11
.LBB22_28:
	s_and_b32 s2, s33, s2
	s_delay_alu instid0(SALU_CYCLE_1)
	s_and_b32 exec_lo, exec_lo, s2
	s_cbranch_execz .LBB22_51
; %bb.29:
	v_mad_nc_u64_u32 v[12:13], s22, s18, v[12:13]
	s_load_b64 s[2:3], s[0:1], 0x78
	s_wait_xcnt 0x0
	v_cmp_neq_f64_e64 s0, 0, v[6:7]
	s_cmp_lg_u32 s16, 1
	s_mov_b32 s4, exec_lo
	s_cselect_b32 s1, -1, 0
	v_mad_u32 v13, s23, s18, v13
	s_wait_kmcnt 0x0
	s_delay_alu instid0(VALU_DEP_1) | instskip(SKIP_1) | instid1(VALU_DEP_2)
	v_mul_u64_e32 v[14:15], s[2:3], v[12:13]
	v_lshl_add_u64 v[12:13], v[12:13], 3, s[24:25]
	v_lshl_add_u64 v[14:15], v[14:15], 3, s[24:25]
	v_cmpx_gt_i64_e64 s[6:7], v[10:11]
	s_cbranch_execz .LBB22_40
; %bb.30:
	s_and_saveexec_b32 s5, s0
	s_delay_alu instid0(SALU_CYCLE_1)
	s_xor_b32 s5, exec_lo, s5
	s_cbranch_execz .LBB22_35
; %bb.31:
	s_and_b32 vcc_lo, exec_lo, s1
	s_mov_b32 s8, -1
	s_cbranch_vccz .LBB22_33
; %bb.32:
	v_lshl_add_u64 v[16:17], v[10:11], 3, v[14:15]
	v_mul_f64_e32 v[20:21], v[4:5], v[0:1]
	s_mov_b32 s8, 0
	global_load_b64 v[18:19], v[16:17], off
	s_wait_loadcnt 0x0
	v_fmac_f64_e32 v[20:21], v[6:7], v[18:19]
	global_store_b64 v[16:17], v[20:21], off
.LBB22_33:
	s_and_not1_b32 vcc_lo, exec_lo, s8
	s_cbranch_vccnz .LBB22_35
; %bb.34:
	v_mul_u64_e32 v[10:11], s[2:3], v[10:11]
	v_mul_f64_e32 v[18:19], v[4:5], v[0:1]
	s_delay_alu instid0(VALU_DEP_2)
	v_lshl_add_u64 v[10:11], v[10:11], 3, v[12:13]
	global_load_b64 v[16:17], v[10:11], off
	s_wait_loadcnt 0x0
	v_fmac_f64_e32 v[18:19], v[6:7], v[16:17]
	global_store_b64 v[10:11], v[18:19], off
                                        ; implicit-def: $vgpr10_vgpr11
.LBB22_35:
	s_wait_xcnt 0x0
	s_and_not1_saveexec_b32 s5, s5
	s_cbranch_execz .LBB22_40
; %bb.36:
	v_mul_f64_e32 v[0:1], v[4:5], v[0:1]
	s_and_b32 vcc_lo, exec_lo, s1
	s_mov_b32 s5, -1
	s_cbranch_vccz .LBB22_38
; %bb.37:
	v_lshl_add_u64 v[16:17], v[10:11], 3, v[14:15]
	s_mov_b32 s5, 0
	global_store_b64 v[16:17], v[0:1], off
.LBB22_38:
	s_and_not1_b32 vcc_lo, exec_lo, s5
	s_cbranch_vccnz .LBB22_40
; %bb.39:
	v_mul_u64_e32 v[10:11], s[2:3], v[10:11]
	s_delay_alu instid0(VALU_DEP_1)
	v_lshl_add_u64 v[10:11], v[10:11], 3, v[12:13]
	global_store_b64 v[10:11], v[0:1], off
.LBB22_40:
	s_wait_xcnt 0x0
	s_or_b32 exec_lo, exec_lo, s4
	v_cmp_gt_i64_e32 vcc_lo, s[6:7], v[8:9]
	s_and_b32 exec_lo, exec_lo, vcc_lo
	s_cbranch_execz .LBB22_51
; %bb.41:
	v_cndmask_b32_e64 v10, 0, 1, s1
	s_and_saveexec_b32 s1, s0
	s_delay_alu instid0(SALU_CYCLE_1)
	s_xor_b32 s0, exec_lo, s1
	s_cbranch_execz .LBB22_46
; %bb.42:
	s_delay_alu instid0(VALU_DEP_1)
	v_cmp_ne_u32_e32 vcc_lo, 1, v10
	s_mov_b32 s1, -1
	s_cbranch_vccnz .LBB22_44
; %bb.43:
	v_lshl_add_u64 v[0:1], v[8:9], 3, v[14:15]
	v_mul_f64_e32 v[14:15], v[4:5], v[2:3]
	s_mov_b32 s1, 0
	global_load_b64 v[10:11], v[0:1], off
	s_wait_loadcnt 0x0
	v_fmac_f64_e32 v[14:15], v[6:7], v[10:11]
	global_store_b64 v[0:1], v[14:15], off
.LBB22_44:
	s_and_not1_b32 vcc_lo, exec_lo, s1
                                        ; implicit-def: $vgpr10
                                        ; implicit-def: $vgpr14_vgpr15
	s_cbranch_vccnz .LBB22_46
; %bb.45:
	s_wait_xcnt 0x0
	v_mul_u64_e32 v[0:1], s[2:3], v[8:9]
	v_mul_f64_e32 v[2:3], v[4:5], v[2:3]
                                        ; implicit-def: $vgpr4_vgpr5
                                        ; implicit-def: $vgpr10
                                        ; implicit-def: $vgpr14_vgpr15
	s_delay_alu instid0(VALU_DEP_2)
	v_lshl_add_u64 v[0:1], v[0:1], 3, v[12:13]
                                        ; implicit-def: $vgpr12_vgpr13
	global_load_b64 v[8:9], v[0:1], off
	s_wait_loadcnt 0x0
	v_fmac_f64_e32 v[2:3], v[6:7], v[8:9]
                                        ; implicit-def: $vgpr8_vgpr9
	global_store_b64 v[0:1], v[2:3], off
                                        ; implicit-def: $vgpr0_vgpr1_vgpr2_vgpr3
.LBB22_46:
	s_wait_xcnt 0x0
	s_and_not1_saveexec_b32 s0, s0
	s_cbranch_execz .LBB22_51
; %bb.47:
	v_mul_f64_e32 v[0:1], v[4:5], v[2:3]
	v_cmp_ne_u32_e32 vcc_lo, 1, v10
	s_mov_b32 s0, -1
	s_cbranch_vccnz .LBB22_49
; %bb.48:
	v_lshl_add_u64 v[2:3], v[8:9], 3, v[14:15]
	s_mov_b32 s0, 0
	global_store_b64 v[2:3], v[0:1], off
.LBB22_49:
	s_and_not1_b32 vcc_lo, exec_lo, s0
	s_cbranch_vccnz .LBB22_51
; %bb.50:
	s_wait_xcnt 0x0
	v_mul_u64_e32 v[2:3], s[2:3], v[8:9]
	s_delay_alu instid0(VALU_DEP_1)
	v_lshl_add_u64 v[2:3], v[2:3], 3, v[12:13]
	global_store_b64 v[2:3], v[0:1], off
.LBB22_51:
	s_endpgm
	.section	.rodata,"a",@progbits
	.p2align	6, 0x0
	.amdhsa_kernel _ZN9rocsparseL31bsrmm_large_blockdim_kernel_extILj16ELj16ELj2EllddddEEvb20rocsparse_direction_T3_S2_llNS_24const_host_device_scalarIT7_EEPKT2_PKS2_PKT4_S2_PKT5_llS5_PT6_ll16rocsparse_order_21rocsparse_index_base_b
		.amdhsa_group_segment_fixed_size 6144
		.amdhsa_private_segment_fixed_size 0
		.amdhsa_kernarg_size 148
		.amdhsa_user_sgpr_count 2
		.amdhsa_user_sgpr_dispatch_ptr 0
		.amdhsa_user_sgpr_queue_ptr 0
		.amdhsa_user_sgpr_kernarg_segment_ptr 1
		.amdhsa_user_sgpr_dispatch_id 0
		.amdhsa_user_sgpr_kernarg_preload_length 0
		.amdhsa_user_sgpr_kernarg_preload_offset 0
		.amdhsa_user_sgpr_private_segment_size 0
		.amdhsa_wavefront_size32 1
		.amdhsa_uses_dynamic_stack 0
		.amdhsa_enable_private_segment 0
		.amdhsa_system_sgpr_workgroup_id_x 1
		.amdhsa_system_sgpr_workgroup_id_y 1
		.amdhsa_system_sgpr_workgroup_id_z 0
		.amdhsa_system_sgpr_workgroup_info 0
		.amdhsa_system_vgpr_workitem_id 1
		.amdhsa_next_free_vgpr 36
		.amdhsa_next_free_sgpr 38
		.amdhsa_named_barrier_count 0
		.amdhsa_reserve_vcc 1
		.amdhsa_float_round_mode_32 0
		.amdhsa_float_round_mode_16_64 0
		.amdhsa_float_denorm_mode_32 3
		.amdhsa_float_denorm_mode_16_64 3
		.amdhsa_fp16_overflow 0
		.amdhsa_memory_ordered 1
		.amdhsa_forward_progress 1
		.amdhsa_inst_pref_size 14
		.amdhsa_round_robin_scheduling 0
		.amdhsa_exception_fp_ieee_invalid_op 0
		.amdhsa_exception_fp_denorm_src 0
		.amdhsa_exception_fp_ieee_div_zero 0
		.amdhsa_exception_fp_ieee_overflow 0
		.amdhsa_exception_fp_ieee_underflow 0
		.amdhsa_exception_fp_ieee_inexact 0
		.amdhsa_exception_int_div_zero 0
	.end_amdhsa_kernel
	.section	.text._ZN9rocsparseL31bsrmm_large_blockdim_kernel_extILj16ELj16ELj2EllddddEEvb20rocsparse_direction_T3_S2_llNS_24const_host_device_scalarIT7_EEPKT2_PKS2_PKT4_S2_PKT5_llS5_PT6_ll16rocsparse_order_21rocsparse_index_base_b,"axG",@progbits,_ZN9rocsparseL31bsrmm_large_blockdim_kernel_extILj16ELj16ELj2EllddddEEvb20rocsparse_direction_T3_S2_llNS_24const_host_device_scalarIT7_EEPKT2_PKS2_PKT4_S2_PKT5_llS5_PT6_ll16rocsparse_order_21rocsparse_index_base_b,comdat
.Lfunc_end22:
	.size	_ZN9rocsparseL31bsrmm_large_blockdim_kernel_extILj16ELj16ELj2EllddddEEvb20rocsparse_direction_T3_S2_llNS_24const_host_device_scalarIT7_EEPKT2_PKS2_PKT4_S2_PKT5_llS5_PT6_ll16rocsparse_order_21rocsparse_index_base_b, .Lfunc_end22-_ZN9rocsparseL31bsrmm_large_blockdim_kernel_extILj16ELj16ELj2EllddddEEvb20rocsparse_direction_T3_S2_llNS_24const_host_device_scalarIT7_EEPKT2_PKS2_PKT4_S2_PKT5_llS5_PT6_ll16rocsparse_order_21rocsparse_index_base_b
                                        ; -- End function
	.set _ZN9rocsparseL31bsrmm_large_blockdim_kernel_extILj16ELj16ELj2EllddddEEvb20rocsparse_direction_T3_S2_llNS_24const_host_device_scalarIT7_EEPKT2_PKS2_PKT4_S2_PKT5_llS5_PT6_ll16rocsparse_order_21rocsparse_index_base_b.num_vgpr, 36
	.set _ZN9rocsparseL31bsrmm_large_blockdim_kernel_extILj16ELj16ELj2EllddddEEvb20rocsparse_direction_T3_S2_llNS_24const_host_device_scalarIT7_EEPKT2_PKS2_PKT4_S2_PKT5_llS5_PT6_ll16rocsparse_order_21rocsparse_index_base_b.num_agpr, 0
	.set _ZN9rocsparseL31bsrmm_large_blockdim_kernel_extILj16ELj16ELj2EllddddEEvb20rocsparse_direction_T3_S2_llNS_24const_host_device_scalarIT7_EEPKT2_PKS2_PKT4_S2_PKT5_llS5_PT6_ll16rocsparse_order_21rocsparse_index_base_b.numbered_sgpr, 38
	.set _ZN9rocsparseL31bsrmm_large_blockdim_kernel_extILj16ELj16ELj2EllddddEEvb20rocsparse_direction_T3_S2_llNS_24const_host_device_scalarIT7_EEPKT2_PKS2_PKT4_S2_PKT5_llS5_PT6_ll16rocsparse_order_21rocsparse_index_base_b.num_named_barrier, 0
	.set _ZN9rocsparseL31bsrmm_large_blockdim_kernel_extILj16ELj16ELj2EllddddEEvb20rocsparse_direction_T3_S2_llNS_24const_host_device_scalarIT7_EEPKT2_PKS2_PKT4_S2_PKT5_llS5_PT6_ll16rocsparse_order_21rocsparse_index_base_b.private_seg_size, 0
	.set _ZN9rocsparseL31bsrmm_large_blockdim_kernel_extILj16ELj16ELj2EllddddEEvb20rocsparse_direction_T3_S2_llNS_24const_host_device_scalarIT7_EEPKT2_PKS2_PKT4_S2_PKT5_llS5_PT6_ll16rocsparse_order_21rocsparse_index_base_b.uses_vcc, 1
	.set _ZN9rocsparseL31bsrmm_large_blockdim_kernel_extILj16ELj16ELj2EllddddEEvb20rocsparse_direction_T3_S2_llNS_24const_host_device_scalarIT7_EEPKT2_PKS2_PKT4_S2_PKT5_llS5_PT6_ll16rocsparse_order_21rocsparse_index_base_b.uses_flat_scratch, 0
	.set _ZN9rocsparseL31bsrmm_large_blockdim_kernel_extILj16ELj16ELj2EllddddEEvb20rocsparse_direction_T3_S2_llNS_24const_host_device_scalarIT7_EEPKT2_PKS2_PKT4_S2_PKT5_llS5_PT6_ll16rocsparse_order_21rocsparse_index_base_b.has_dyn_sized_stack, 0
	.set _ZN9rocsparseL31bsrmm_large_blockdim_kernel_extILj16ELj16ELj2EllddddEEvb20rocsparse_direction_T3_S2_llNS_24const_host_device_scalarIT7_EEPKT2_PKS2_PKT4_S2_PKT5_llS5_PT6_ll16rocsparse_order_21rocsparse_index_base_b.has_recursion, 0
	.set _ZN9rocsparseL31bsrmm_large_blockdim_kernel_extILj16ELj16ELj2EllddddEEvb20rocsparse_direction_T3_S2_llNS_24const_host_device_scalarIT7_EEPKT2_PKS2_PKT4_S2_PKT5_llS5_PT6_ll16rocsparse_order_21rocsparse_index_base_b.has_indirect_call, 0
	.section	.AMDGPU.csdata,"",@progbits
; Kernel info:
; codeLenInByte = 1780
; TotalNumSgprs: 40
; NumVgprs: 36
; ScratchSize: 0
; MemoryBound: 0
; FloatMode: 240
; IeeeMode: 1
; LDSByteSize: 6144 bytes/workgroup (compile time only)
; SGPRBlocks: 0
; VGPRBlocks: 2
; NumSGPRsForWavesPerEU: 40
; NumVGPRsForWavesPerEU: 36
; NamedBarCnt: 0
; Occupancy: 16
; WaveLimiterHint : 1
; COMPUTE_PGM_RSRC2:SCRATCH_EN: 0
; COMPUTE_PGM_RSRC2:USER_SGPR: 2
; COMPUTE_PGM_RSRC2:TRAP_HANDLER: 0
; COMPUTE_PGM_RSRC2:TGID_X_EN: 1
; COMPUTE_PGM_RSRC2:TGID_Y_EN: 1
; COMPUTE_PGM_RSRC2:TGID_Z_EN: 0
; COMPUTE_PGM_RSRC2:TIDIG_COMP_CNT: 1
	.section	.text._ZN9rocsparseL31bsrmm_large_blockdim_kernel_extILj32ELj32ELj2EllddddEEvb20rocsparse_direction_T3_S2_llNS_24const_host_device_scalarIT7_EEPKT2_PKS2_PKT4_S2_PKT5_llS5_PT6_ll16rocsparse_order_21rocsparse_index_base_b,"axG",@progbits,_ZN9rocsparseL31bsrmm_large_blockdim_kernel_extILj32ELj32ELj2EllddddEEvb20rocsparse_direction_T3_S2_llNS_24const_host_device_scalarIT7_EEPKT2_PKS2_PKT4_S2_PKT5_llS5_PT6_ll16rocsparse_order_21rocsparse_index_base_b,comdat
	.globl	_ZN9rocsparseL31bsrmm_large_blockdim_kernel_extILj32ELj32ELj2EllddddEEvb20rocsparse_direction_T3_S2_llNS_24const_host_device_scalarIT7_EEPKT2_PKS2_PKT4_S2_PKT5_llS5_PT6_ll16rocsparse_order_21rocsparse_index_base_b ; -- Begin function _ZN9rocsparseL31bsrmm_large_blockdim_kernel_extILj32ELj32ELj2EllddddEEvb20rocsparse_direction_T3_S2_llNS_24const_host_device_scalarIT7_EEPKT2_PKS2_PKT4_S2_PKT5_llS5_PT6_ll16rocsparse_order_21rocsparse_index_base_b
	.p2align	8
	.type	_ZN9rocsparseL31bsrmm_large_blockdim_kernel_extILj32ELj32ELj2EllddddEEvb20rocsparse_direction_T3_S2_llNS_24const_host_device_scalarIT7_EEPKT2_PKS2_PKT4_S2_PKT5_llS5_PT6_ll16rocsparse_order_21rocsparse_index_base_b,@function
_ZN9rocsparseL31bsrmm_large_blockdim_kernel_extILj32ELj32ELj2EllddddEEvb20rocsparse_direction_T3_S2_llNS_24const_host_device_scalarIT7_EEPKT2_PKS2_PKT4_S2_PKT5_llS5_PT6_ll16rocsparse_order_21rocsparse_index_base_b: ; @_ZN9rocsparseL31bsrmm_large_blockdim_kernel_extILj32ELj32ELj2EllddddEEvb20rocsparse_direction_T3_S2_llNS_24const_host_device_scalarIT7_EEPKT2_PKS2_PKT4_S2_PKT5_llS5_PT6_ll16rocsparse_order_21rocsparse_index_base_b
; %bb.0:
	s_clause 0x2
	s_load_b96 s[16:18], s[0:1], 0x88
	s_load_b64 s[4:5], s[0:1], 0x28
	s_load_b64 s[2:3], s[0:1], 0x68
	s_wait_kmcnt 0x0
	s_bitcmp1_b32 s18, 0
	v_mov_b64_e32 v[4:5], s[4:5]
	s_cselect_b32 s6, -1, 0
	s_delay_alu instid0(SALU_CYCLE_1)
	s_and_b32 vcc_lo, exec_lo, s6
	s_xor_b32 s6, s6, -1
	s_cbranch_vccnz .LBB23_2
; %bb.1:
	v_mov_b32_e32 v1, 0
	flat_load_b64 v[4:5], v1, s[4:5]
.LBB23_2:
	v_mov_b64_e32 v[6:7], s[2:3]
	s_and_not1_b32 vcc_lo, exec_lo, s6
	s_cbranch_vccnz .LBB23_4
; %bb.3:
	s_wait_xcnt 0x0
	v_mov_b32_e32 v1, 0
	flat_load_b64 v[6:7], v1, s[2:3]
.LBB23_4:
	s_wait_loadcnt_dscnt 0x0
	v_cmp_neq_f64_e32 vcc_lo, 0, v[4:5]
	s_delay_alu instid0(VALU_DEP_2) | instskip(SKIP_2) | instid1(SALU_CYCLE_1)
	v_cmp_neq_f64_e64 s2, 1.0, v[6:7]
	s_mov_b64 s[20:21], 0
	s_or_b32 s2, vcc_lo, s2
	s_and_saveexec_b32 s3, s2
	s_cbranch_execz .LBB23_51
; %bb.5:
	s_clause 0x1
	s_load_b128 s[4:7], s[0:1], 0x8
	s_load_b64 s[2:3], s[0:1], 0x30
	s_bfe_u32 s8, ttmp6, 0x4000c
	s_and_b32 s9, ttmp6, 15
	s_add_co_i32 s8, s8, 1
	s_delay_alu instid0(SALU_CYCLE_1) | instskip(SKIP_4) | instid1(SALU_CYCLE_1)
	s_mul_i32 s10, ttmp9, s8
	s_getreg_b32 s8, hwreg(HW_REG_IB_STS2, 6, 4)
	s_add_co_i32 s9, s9, s10
	s_cmp_eq_u32 s8, 0
	s_cselect_b32 s18, ttmp9, s9
	s_ashr_i32 s19, s18, 31
	s_wait_kmcnt 0x0
	v_cmp_le_i64_e64 s9, s[4:5], s[18:19]
	v_cmp_gt_i64_e64 s33, s[4:5], s[18:19]
	s_mov_b32 s5, 0
	s_and_b32 vcc_lo, exec_lo, s9
	s_cbranch_vccnz .LBB23_7
; %bb.6:
	s_lshl_b64 s[10:11], s[18:19], 3
	s_mov_b32 s4, s17
	s_add_nc_u64 s[10:11], s[2:3], s[10:11]
	s_load_b64 s[10:11], s[10:11], 0x0
	s_wait_kmcnt 0x0
	s_sub_nc_u64 s[20:21], s[10:11], s[4:5]
.LBB23_7:
	s_and_not1_b32 vcc_lo, exec_lo, s33
	s_mov_b64 s[26:27], 0
	s_cbranch_vccnz .LBB23_9
; %bb.8:
	s_lshl_b64 s[4:5], s[18:19], 3
	s_delay_alu instid0(SALU_CYCLE_1)
	s_add_nc_u64 s[2:3], s[2:3], s[4:5]
	s_mov_b32 s5, 0
	s_load_b64 s[2:3], s[2:3], 0x8
	s_mov_b32 s4, s17
	s_wait_kmcnt 0x0
	s_sub_nc_u64 s[26:27], s[2:3], s[4:5]
.LBB23_9:
	s_bfe_u32 s2, ttmp6, 0x40010
	s_clause 0x1
	s_load_b64 s[22:23], s[0:1], 0x48
	s_load_b64 s[24:25], s[0:1], 0x70
	s_add_co_i32 s2, s2, 1
	s_bfe_u32 s3, ttmp6, 0x40004
	s_mul_i32 s2, ttmp7, s2
	v_bfe_u32 v18, v0, 10, 10
	s_add_co_i32 s3, s3, s2
	s_cmp_eq_u32 s8, 0
	v_and_b32_e32 v12, 0x3ff, v0
	s_cselect_b32 s2, ttmp7, s3
	v_cmp_ge_i64_e64 s5, s[20:21], s[26:27]
	v_lshl_add_u32 v10, s2, 6, v18
	v_mov_b32_e32 v11, 0
	s_mov_b32 s29, 0
	s_delay_alu instid0(VALU_DEP_1)
	v_dual_mov_b32 v13, v11 :: v_dual_add_nc_u32 v8, 32, v10
	v_mov_b32_e32 v9, v11
	v_cmp_gt_i64_e64 s3, s[6:7], v[10:11]
	s_and_b32 vcc_lo, exec_lo, s5
	s_wait_kmcnt 0x0
	v_cmp_gt_i64_e64 s2, s[22:23], v[12:13]
	v_cmp_gt_i64_e64 s4, s[6:7], v[8:9]
	s_cbranch_vccnz .LBB23_27
; %bb.10:
	v_dual_mov_b32 v19, v11 :: v_dual_lshlrev_b32 v24, 3, v18
	s_load_b128 s[8:11], s[0:1], 0x50
	v_mul_u64_e32 v[20:21], s[22:23], v[12:13]
	s_clause 0x1
	s_load_b128 s[12:15], s[0:1], 0x38
	s_load_b64 s[34:35], s[0:1], 0x0
	v_mul_u64_e32 v[22:23], s[22:23], v[18:19]
	v_cmp_gt_i64_e32 vcc_lo, s[22:23], v[18:19]
	v_dual_mov_b32 v31, v11 :: v_dual_lshlrev_b32 v30, 3, v12
	v_dual_lshlrev_b32 v26, 8, v18 :: v_dual_lshlrev_b32 v32, 8, v12
	v_dual_mov_b32 v25, v11 :: v_dual_mov_b32 v0, v11
	s_and_b32 s19, s2, vcc_lo
	v_cmp_gt_i64_e64 s36, s[22:23], 0
	v_dual_mov_b32 v1, v11 :: v_dual_mov_b32 v2, v11
	v_dual_mov_b32 v3, v11 :: v_dual_add_nc_u32 v28, 0x2000, v26
	v_add_nc_u32_e32 v27, 0x4000, v32
	s_mul_u64 s[30:31], s[22:23], s[22:23]
	s_wait_kmcnt 0x0
	v_mul_u64_e32 v[14:15], s[10:11], v[10:11]
	v_mul_u64_e32 v[16:17], s[10:11], v[8:9]
	s_mov_b32 s28, s17
	s_bitcmp1_b32 s34, 0
	s_cselect_b32 s5, -1, 0
	s_cmp_eq_u32 s35, 0
	s_cselect_b32 vcc_lo, -1, 0
	s_and_b32 s17, s3, s36
	s_and_b32 s34, s4, s36
	v_lshl_add_u64 v[18:19], v[20:21], 3, s[14:15]
	v_lshl_add_u64 v[20:21], v[22:23], 3, s[14:15]
	s_delay_alu instid0(VALU_DEP_2) | instskip(SKIP_1) | instid1(VALU_DEP_3)
	v_add_nc_u64_e32 v[22:23], v[18:19], v[24:25]
	v_add_nc_u64_e32 v[18:19], s[8:9], v[30:31]
	;; [unrolled: 1-line block ×3, first 2 shown]
	v_add_nc_u32_e32 v33, 0x4000, v24
	s_delay_alu instid0(VALU_DEP_2) | instskip(NEXT) | instid1(VALU_DEP_2)
	v_dual_add_nc_u32 v29, v30, v26 :: v_dual_cndmask_b32 v21, v21, v23, vcc_lo
	v_dual_cndmask_b32 v20, v20, v22, vcc_lo :: v_dual_add_nc_u32 v30, v33, v32
	s_branch .LBB23_13
.LBB23_11:                              ;   in Loop: Header=BB23_13 Depth=1
	s_or_b32 exec_lo, exec_lo, s36
.LBB23_12:                              ;   in Loop: Header=BB23_13 Depth=1
	s_delay_alu instid0(SALU_CYCLE_1) | instskip(SKIP_1) | instid1(SALU_CYCLE_1)
	s_or_b32 exec_lo, exec_lo, s35
	s_add_nc_u64 s[20:21], s[20:21], 1
	v_cmp_ge_i64_e64 s14, s[20:21], s[26:27]
	s_barrier_signal -1
	s_barrier_wait -1
	s_and_b32 vcc_lo, exec_lo, s14
	s_cbranch_vccnz .LBB23_28
.LBB23_13:                              ; =>This Loop Header: Depth=1
                                        ;     Child Loop BB23_23 Depth 2
                                        ;     Child Loop BB23_26 Depth 2
	s_and_saveexec_b32 s14, s2
	s_cbranch_execz .LBB23_18
; %bb.14:                               ;   in Loop: Header=BB23_13 Depth=1
	s_lshl_b64 s[36:37], s[20:21], 3
	s_delay_alu instid0(SALU_CYCLE_1) | instskip(SKIP_3) | instid1(SALU_CYCLE_1)
	s_add_nc_u64 s[36:37], s[12:13], s[36:37]
	s_load_b64 s[36:37], s[36:37], 0x0
	s_wait_kmcnt 0x0
	s_sub_nc_u64 s[36:37], s[36:37], s[28:29]
	s_mul_u64 s[36:37], s[36:37], s[22:23]
	s_delay_alu instid0(SALU_CYCLE_1) | instskip(SKIP_1) | instid1(VALU_DEP_2)
	v_add_nc_u64_e32 v[22:23], s[36:37], v[12:13]
	v_lshl_add_u64 v[24:25], s[36:37], 3, v[18:19]
	v_mul_u64_e32 v[22:23], s[10:11], v[22:23]
	s_delay_alu instid0(VALU_DEP_1)
	v_lshl_add_u64 v[22:23], v[22:23], 3, s[8:9]
	s_and_saveexec_b32 s15, s3
	s_cbranch_execz .LBB23_16
; %bb.15:                               ;   in Loop: Header=BB23_13 Depth=1
	s_delay_alu instid0(VALU_DEP_1) | instskip(SKIP_1) | instid1(VALU_DEP_1)
	v_lshl_add_u64 v[32:33], v[10:11], 3, v[22:23]
	v_lshl_add_u64 v[34:35], v[14:15], 3, v[24:25]
	v_dual_cndmask_b32 v33, v33, v35, s5 :: v_dual_cndmask_b32 v32, v32, v34, s5
	global_load_b64 v[32:33], v[32:33], off
	s_wait_loadcnt 0x0
	ds_store_b64 v29, v[32:33]
.LBB23_16:                              ;   in Loop: Header=BB23_13 Depth=1
	s_or_b32 exec_lo, exec_lo, s15
	s_delay_alu instid0(SALU_CYCLE_1)
	s_and_b32 exec_lo, exec_lo, s4
	s_cbranch_execz .LBB23_18
; %bb.17:                               ;   in Loop: Header=BB23_13 Depth=1
	v_lshl_add_u64 v[24:25], v[16:17], 3, v[24:25]
	v_lshl_add_u64 v[22:23], v[8:9], 3, v[22:23]
	s_delay_alu instid0(VALU_DEP_1)
	v_dual_cndmask_b32 v23, v23, v25, s5 :: v_dual_cndmask_b32 v22, v22, v24, s5
	global_load_b64 v[22:23], v[22:23], off
	s_wait_loadcnt 0x0
	ds_store_b64 v29, v[22:23] offset:8192
.LBB23_18:                              ;   in Loop: Header=BB23_13 Depth=1
	s_or_b32 exec_lo, exec_lo, s14
	s_and_saveexec_b32 s14, s19
	s_cbranch_execz .LBB23_20
; %bb.19:                               ;   in Loop: Header=BB23_13 Depth=1
	s_mul_u64 s[36:37], s[30:31], s[20:21]
	s_delay_alu instid0(SALU_CYCLE_1)
	v_lshl_add_u64 v[22:23], s[36:37], 3, v[20:21]
	global_load_b64 v[22:23], v[22:23], off
	s_wait_loadcnt 0x0
	ds_store_b64 v30, v[22:23]
.LBB23_20:                              ;   in Loop: Header=BB23_13 Depth=1
	s_or_b32 exec_lo, exec_lo, s14
	s_wait_dscnt 0x0
	s_barrier_signal -1
	s_barrier_wait -1
	s_and_saveexec_b32 s35, s2
	s_cbranch_execz .LBB23_12
; %bb.21:                               ;   in Loop: Header=BB23_13 Depth=1
	s_and_saveexec_b32 s36, s17
	s_cbranch_execz .LBB23_24
; %bb.22:                               ;   in Loop: Header=BB23_13 Depth=1
	v_dual_mov_b32 v22, v27 :: v_dual_mov_b32 v23, v26
	s_mov_b64 s[14:15], s[22:23]
.LBB23_23:                              ;   Parent Loop BB23_13 Depth=1
                                        ; =>  This Inner Loop Header: Depth=2
	ds_load_b64 v[24:25], v22
	ds_load_b64 v[32:33], v23
	v_dual_add_nc_u32 v23, 8, v23 :: v_dual_add_nc_u32 v22, 8, v22
	s_add_nc_u64 s[14:15], s[14:15], -1
	s_delay_alu instid0(SALU_CYCLE_1)
	s_cmp_lg_u64 s[14:15], 0
	s_wait_dscnt 0x0
	v_fmac_f64_e32 v[0:1], v[24:25], v[32:33]
	s_cbranch_scc1 .LBB23_23
.LBB23_24:                              ;   in Loop: Header=BB23_13 Depth=1
	s_or_b32 exec_lo, exec_lo, s36
	s_and_saveexec_b32 s36, s34
	s_cbranch_execz .LBB23_11
; %bb.25:                               ;   in Loop: Header=BB23_13 Depth=1
	v_dual_mov_b32 v22, v27 :: v_dual_mov_b32 v23, v28
	s_mov_b64 s[14:15], s[22:23]
.LBB23_26:                              ;   Parent Loop BB23_13 Depth=1
                                        ; =>  This Inner Loop Header: Depth=2
	ds_load_b64 v[24:25], v22
	ds_load_b64 v[32:33], v23
	v_dual_add_nc_u32 v23, 8, v23 :: v_dual_add_nc_u32 v22, 8, v22
	s_add_nc_u64 s[14:15], s[14:15], -1
	s_delay_alu instid0(SALU_CYCLE_1)
	s_cmp_lg_u64 s[14:15], 0
	s_wait_dscnt 0x0
	v_fmac_f64_e32 v[2:3], v[24:25], v[32:33]
	s_cbranch_scc1 .LBB23_26
	s_branch .LBB23_11
.LBB23_27:
	v_dual_mov_b32 v0, v11 :: v_dual_mov_b32 v1, v11
	v_dual_mov_b32 v2, v11 :: v_dual_mov_b32 v3, v11
.LBB23_28:
	s_and_b32 s2, s33, s2
	s_delay_alu instid0(SALU_CYCLE_1)
	s_and_b32 exec_lo, exec_lo, s2
	s_cbranch_execz .LBB23_51
; %bb.29:
	v_mad_nc_u64_u32 v[12:13], s22, s18, v[12:13]
	s_load_b64 s[2:3], s[0:1], 0x78
	s_wait_xcnt 0x0
	v_cmp_neq_f64_e64 s0, 0, v[6:7]
	s_cmp_lg_u32 s16, 1
	s_mov_b32 s4, exec_lo
	s_cselect_b32 s1, -1, 0
	v_mad_u32 v13, s23, s18, v13
	s_wait_kmcnt 0x0
	s_delay_alu instid0(VALU_DEP_1) | instskip(SKIP_1) | instid1(VALU_DEP_2)
	v_mul_u64_e32 v[14:15], s[2:3], v[12:13]
	v_lshl_add_u64 v[12:13], v[12:13], 3, s[24:25]
	v_lshl_add_u64 v[14:15], v[14:15], 3, s[24:25]
	v_cmpx_gt_i64_e64 s[6:7], v[10:11]
	s_cbranch_execz .LBB23_40
; %bb.30:
	s_and_saveexec_b32 s5, s0
	s_delay_alu instid0(SALU_CYCLE_1)
	s_xor_b32 s5, exec_lo, s5
	s_cbranch_execz .LBB23_35
; %bb.31:
	s_and_b32 vcc_lo, exec_lo, s1
	s_mov_b32 s8, -1
	s_cbranch_vccz .LBB23_33
; %bb.32:
	v_lshl_add_u64 v[16:17], v[10:11], 3, v[14:15]
	v_mul_f64_e32 v[20:21], v[4:5], v[0:1]
	s_mov_b32 s8, 0
	global_load_b64 v[18:19], v[16:17], off
	s_wait_loadcnt 0x0
	v_fmac_f64_e32 v[20:21], v[6:7], v[18:19]
	global_store_b64 v[16:17], v[20:21], off
.LBB23_33:
	s_and_not1_b32 vcc_lo, exec_lo, s8
	s_cbranch_vccnz .LBB23_35
; %bb.34:
	v_mul_u64_e32 v[10:11], s[2:3], v[10:11]
	v_mul_f64_e32 v[18:19], v[4:5], v[0:1]
	s_delay_alu instid0(VALU_DEP_2)
	v_lshl_add_u64 v[10:11], v[10:11], 3, v[12:13]
	global_load_b64 v[16:17], v[10:11], off
	s_wait_loadcnt 0x0
	v_fmac_f64_e32 v[18:19], v[6:7], v[16:17]
	global_store_b64 v[10:11], v[18:19], off
                                        ; implicit-def: $vgpr10_vgpr11
.LBB23_35:
	s_wait_xcnt 0x0
	s_and_not1_saveexec_b32 s5, s5
	s_cbranch_execz .LBB23_40
; %bb.36:
	v_mul_f64_e32 v[0:1], v[4:5], v[0:1]
	s_and_b32 vcc_lo, exec_lo, s1
	s_mov_b32 s5, -1
	s_cbranch_vccz .LBB23_38
; %bb.37:
	v_lshl_add_u64 v[16:17], v[10:11], 3, v[14:15]
	s_mov_b32 s5, 0
	global_store_b64 v[16:17], v[0:1], off
.LBB23_38:
	s_and_not1_b32 vcc_lo, exec_lo, s5
	s_cbranch_vccnz .LBB23_40
; %bb.39:
	v_mul_u64_e32 v[10:11], s[2:3], v[10:11]
	s_delay_alu instid0(VALU_DEP_1)
	v_lshl_add_u64 v[10:11], v[10:11], 3, v[12:13]
	global_store_b64 v[10:11], v[0:1], off
.LBB23_40:
	s_wait_xcnt 0x0
	s_or_b32 exec_lo, exec_lo, s4
	v_cmp_gt_i64_e32 vcc_lo, s[6:7], v[8:9]
	s_and_b32 exec_lo, exec_lo, vcc_lo
	s_cbranch_execz .LBB23_51
; %bb.41:
	v_cndmask_b32_e64 v10, 0, 1, s1
	s_and_saveexec_b32 s1, s0
	s_delay_alu instid0(SALU_CYCLE_1)
	s_xor_b32 s0, exec_lo, s1
	s_cbranch_execz .LBB23_46
; %bb.42:
	s_delay_alu instid0(VALU_DEP_1)
	v_cmp_ne_u32_e32 vcc_lo, 1, v10
	s_mov_b32 s1, -1
	s_cbranch_vccnz .LBB23_44
; %bb.43:
	v_lshl_add_u64 v[0:1], v[8:9], 3, v[14:15]
	v_mul_f64_e32 v[14:15], v[4:5], v[2:3]
	s_mov_b32 s1, 0
	global_load_b64 v[10:11], v[0:1], off
	s_wait_loadcnt 0x0
	v_fmac_f64_e32 v[14:15], v[6:7], v[10:11]
	global_store_b64 v[0:1], v[14:15], off
.LBB23_44:
	s_and_not1_b32 vcc_lo, exec_lo, s1
                                        ; implicit-def: $vgpr10
                                        ; implicit-def: $vgpr14_vgpr15
	s_cbranch_vccnz .LBB23_46
; %bb.45:
	s_wait_xcnt 0x0
	v_mul_u64_e32 v[0:1], s[2:3], v[8:9]
	v_mul_f64_e32 v[2:3], v[4:5], v[2:3]
                                        ; implicit-def: $vgpr4_vgpr5
                                        ; implicit-def: $vgpr10
                                        ; implicit-def: $vgpr14_vgpr15
	s_delay_alu instid0(VALU_DEP_2)
	v_lshl_add_u64 v[0:1], v[0:1], 3, v[12:13]
                                        ; implicit-def: $vgpr12_vgpr13
	global_load_b64 v[8:9], v[0:1], off
	s_wait_loadcnt 0x0
	v_fmac_f64_e32 v[2:3], v[6:7], v[8:9]
                                        ; implicit-def: $vgpr8_vgpr9
	global_store_b64 v[0:1], v[2:3], off
                                        ; implicit-def: $vgpr0_vgpr1_vgpr2_vgpr3
.LBB23_46:
	s_wait_xcnt 0x0
	s_and_not1_saveexec_b32 s0, s0
	s_cbranch_execz .LBB23_51
; %bb.47:
	v_mul_f64_e32 v[0:1], v[4:5], v[2:3]
	v_cmp_ne_u32_e32 vcc_lo, 1, v10
	s_mov_b32 s0, -1
	s_cbranch_vccnz .LBB23_49
; %bb.48:
	v_lshl_add_u64 v[2:3], v[8:9], 3, v[14:15]
	s_mov_b32 s0, 0
	global_store_b64 v[2:3], v[0:1], off
.LBB23_49:
	s_and_not1_b32 vcc_lo, exec_lo, s0
	s_cbranch_vccnz .LBB23_51
; %bb.50:
	s_wait_xcnt 0x0
	v_mul_u64_e32 v[2:3], s[2:3], v[8:9]
	s_delay_alu instid0(VALU_DEP_1)
	v_lshl_add_u64 v[2:3], v[2:3], 3, v[12:13]
	global_store_b64 v[2:3], v[0:1], off
.LBB23_51:
	s_endpgm
	.section	.rodata,"a",@progbits
	.p2align	6, 0x0
	.amdhsa_kernel _ZN9rocsparseL31bsrmm_large_blockdim_kernel_extILj32ELj32ELj2EllddddEEvb20rocsparse_direction_T3_S2_llNS_24const_host_device_scalarIT7_EEPKT2_PKS2_PKT4_S2_PKT5_llS5_PT6_ll16rocsparse_order_21rocsparse_index_base_b
		.amdhsa_group_segment_fixed_size 24576
		.amdhsa_private_segment_fixed_size 0
		.amdhsa_kernarg_size 148
		.amdhsa_user_sgpr_count 2
		.amdhsa_user_sgpr_dispatch_ptr 0
		.amdhsa_user_sgpr_queue_ptr 0
		.amdhsa_user_sgpr_kernarg_segment_ptr 1
		.amdhsa_user_sgpr_dispatch_id 0
		.amdhsa_user_sgpr_kernarg_preload_length 0
		.amdhsa_user_sgpr_kernarg_preload_offset 0
		.amdhsa_user_sgpr_private_segment_size 0
		.amdhsa_wavefront_size32 1
		.amdhsa_uses_dynamic_stack 0
		.amdhsa_enable_private_segment 0
		.amdhsa_system_sgpr_workgroup_id_x 1
		.amdhsa_system_sgpr_workgroup_id_y 1
		.amdhsa_system_sgpr_workgroup_id_z 0
		.amdhsa_system_sgpr_workgroup_info 0
		.amdhsa_system_vgpr_workitem_id 1
		.amdhsa_next_free_vgpr 36
		.amdhsa_next_free_sgpr 38
		.amdhsa_named_barrier_count 0
		.amdhsa_reserve_vcc 1
		.amdhsa_float_round_mode_32 0
		.amdhsa_float_round_mode_16_64 0
		.amdhsa_float_denorm_mode_32 3
		.amdhsa_float_denorm_mode_16_64 3
		.amdhsa_fp16_overflow 0
		.amdhsa_memory_ordered 1
		.amdhsa_forward_progress 1
		.amdhsa_inst_pref_size 14
		.amdhsa_round_robin_scheduling 0
		.amdhsa_exception_fp_ieee_invalid_op 0
		.amdhsa_exception_fp_denorm_src 0
		.amdhsa_exception_fp_ieee_div_zero 0
		.amdhsa_exception_fp_ieee_overflow 0
		.amdhsa_exception_fp_ieee_underflow 0
		.amdhsa_exception_fp_ieee_inexact 0
		.amdhsa_exception_int_div_zero 0
	.end_amdhsa_kernel
	.section	.text._ZN9rocsparseL31bsrmm_large_blockdim_kernel_extILj32ELj32ELj2EllddddEEvb20rocsparse_direction_T3_S2_llNS_24const_host_device_scalarIT7_EEPKT2_PKS2_PKT4_S2_PKT5_llS5_PT6_ll16rocsparse_order_21rocsparse_index_base_b,"axG",@progbits,_ZN9rocsparseL31bsrmm_large_blockdim_kernel_extILj32ELj32ELj2EllddddEEvb20rocsparse_direction_T3_S2_llNS_24const_host_device_scalarIT7_EEPKT2_PKS2_PKT4_S2_PKT5_llS5_PT6_ll16rocsparse_order_21rocsparse_index_base_b,comdat
.Lfunc_end23:
	.size	_ZN9rocsparseL31bsrmm_large_blockdim_kernel_extILj32ELj32ELj2EllddddEEvb20rocsparse_direction_T3_S2_llNS_24const_host_device_scalarIT7_EEPKT2_PKS2_PKT4_S2_PKT5_llS5_PT6_ll16rocsparse_order_21rocsparse_index_base_b, .Lfunc_end23-_ZN9rocsparseL31bsrmm_large_blockdim_kernel_extILj32ELj32ELj2EllddddEEvb20rocsparse_direction_T3_S2_llNS_24const_host_device_scalarIT7_EEPKT2_PKS2_PKT4_S2_PKT5_llS5_PT6_ll16rocsparse_order_21rocsparse_index_base_b
                                        ; -- End function
	.set _ZN9rocsparseL31bsrmm_large_blockdim_kernel_extILj32ELj32ELj2EllddddEEvb20rocsparse_direction_T3_S2_llNS_24const_host_device_scalarIT7_EEPKT2_PKS2_PKT4_S2_PKT5_llS5_PT6_ll16rocsparse_order_21rocsparse_index_base_b.num_vgpr, 36
	.set _ZN9rocsparseL31bsrmm_large_blockdim_kernel_extILj32ELj32ELj2EllddddEEvb20rocsparse_direction_T3_S2_llNS_24const_host_device_scalarIT7_EEPKT2_PKS2_PKT4_S2_PKT5_llS5_PT6_ll16rocsparse_order_21rocsparse_index_base_b.num_agpr, 0
	.set _ZN9rocsparseL31bsrmm_large_blockdim_kernel_extILj32ELj32ELj2EllddddEEvb20rocsparse_direction_T3_S2_llNS_24const_host_device_scalarIT7_EEPKT2_PKS2_PKT4_S2_PKT5_llS5_PT6_ll16rocsparse_order_21rocsparse_index_base_b.numbered_sgpr, 38
	.set _ZN9rocsparseL31bsrmm_large_blockdim_kernel_extILj32ELj32ELj2EllddddEEvb20rocsparse_direction_T3_S2_llNS_24const_host_device_scalarIT7_EEPKT2_PKS2_PKT4_S2_PKT5_llS5_PT6_ll16rocsparse_order_21rocsparse_index_base_b.num_named_barrier, 0
	.set _ZN9rocsparseL31bsrmm_large_blockdim_kernel_extILj32ELj32ELj2EllddddEEvb20rocsparse_direction_T3_S2_llNS_24const_host_device_scalarIT7_EEPKT2_PKS2_PKT4_S2_PKT5_llS5_PT6_ll16rocsparse_order_21rocsparse_index_base_b.private_seg_size, 0
	.set _ZN9rocsparseL31bsrmm_large_blockdim_kernel_extILj32ELj32ELj2EllddddEEvb20rocsparse_direction_T3_S2_llNS_24const_host_device_scalarIT7_EEPKT2_PKS2_PKT4_S2_PKT5_llS5_PT6_ll16rocsparse_order_21rocsparse_index_base_b.uses_vcc, 1
	.set _ZN9rocsparseL31bsrmm_large_blockdim_kernel_extILj32ELj32ELj2EllddddEEvb20rocsparse_direction_T3_S2_llNS_24const_host_device_scalarIT7_EEPKT2_PKS2_PKT4_S2_PKT5_llS5_PT6_ll16rocsparse_order_21rocsparse_index_base_b.uses_flat_scratch, 0
	.set _ZN9rocsparseL31bsrmm_large_blockdim_kernel_extILj32ELj32ELj2EllddddEEvb20rocsparse_direction_T3_S2_llNS_24const_host_device_scalarIT7_EEPKT2_PKS2_PKT4_S2_PKT5_llS5_PT6_ll16rocsparse_order_21rocsparse_index_base_b.has_dyn_sized_stack, 0
	.set _ZN9rocsparseL31bsrmm_large_blockdim_kernel_extILj32ELj32ELj2EllddddEEvb20rocsparse_direction_T3_S2_llNS_24const_host_device_scalarIT7_EEPKT2_PKS2_PKT4_S2_PKT5_llS5_PT6_ll16rocsparse_order_21rocsparse_index_base_b.has_recursion, 0
	.set _ZN9rocsparseL31bsrmm_large_blockdim_kernel_extILj32ELj32ELj2EllddddEEvb20rocsparse_direction_T3_S2_llNS_24const_host_device_scalarIT7_EEPKT2_PKS2_PKT4_S2_PKT5_llS5_PT6_ll16rocsparse_order_21rocsparse_index_base_b.has_indirect_call, 0
	.section	.AMDGPU.csdata,"",@progbits
; Kernel info:
; codeLenInByte = 1784
; TotalNumSgprs: 40
; NumVgprs: 36
; ScratchSize: 0
; MemoryBound: 0
; FloatMode: 240
; IeeeMode: 1
; LDSByteSize: 24576 bytes/workgroup (compile time only)
; SGPRBlocks: 0
; VGPRBlocks: 2
; NumSGPRsForWavesPerEU: 40
; NumVGPRsForWavesPerEU: 36
; NamedBarCnt: 0
; Occupancy: 16
; WaveLimiterHint : 1
; COMPUTE_PGM_RSRC2:SCRATCH_EN: 0
; COMPUTE_PGM_RSRC2:USER_SGPR: 2
; COMPUTE_PGM_RSRC2:TRAP_HANDLER: 0
; COMPUTE_PGM_RSRC2:TGID_X_EN: 1
; COMPUTE_PGM_RSRC2:TGID_Y_EN: 1
; COMPUTE_PGM_RSRC2:TGID_Z_EN: 0
; COMPUTE_PGM_RSRC2:TIDIG_COMP_CNT: 1
	.section	.text._ZN9rocsparseL31bsrmm_large_blockdim_kernel_extILj8ELj8ELj2Eii21rocsparse_complex_numIfES2_S2_S2_EEvb20rocsparse_direction_T3_S4_llNS_24const_host_device_scalarIT7_EEPKT2_PKS4_PKT4_S4_PKT5_llS7_PT6_ll16rocsparse_order_21rocsparse_index_base_b,"axG",@progbits,_ZN9rocsparseL31bsrmm_large_blockdim_kernel_extILj8ELj8ELj2Eii21rocsparse_complex_numIfES2_S2_S2_EEvb20rocsparse_direction_T3_S4_llNS_24const_host_device_scalarIT7_EEPKT2_PKS4_PKT4_S4_PKT5_llS7_PT6_ll16rocsparse_order_21rocsparse_index_base_b,comdat
	.globl	_ZN9rocsparseL31bsrmm_large_blockdim_kernel_extILj8ELj8ELj2Eii21rocsparse_complex_numIfES2_S2_S2_EEvb20rocsparse_direction_T3_S4_llNS_24const_host_device_scalarIT7_EEPKT2_PKS4_PKT4_S4_PKT5_llS7_PT6_ll16rocsparse_order_21rocsparse_index_base_b ; -- Begin function _ZN9rocsparseL31bsrmm_large_blockdim_kernel_extILj8ELj8ELj2Eii21rocsparse_complex_numIfES2_S2_S2_EEvb20rocsparse_direction_T3_S4_llNS_24const_host_device_scalarIT7_EEPKT2_PKS4_PKT4_S4_PKT5_llS7_PT6_ll16rocsparse_order_21rocsparse_index_base_b
	.p2align	8
	.type	_ZN9rocsparseL31bsrmm_large_blockdim_kernel_extILj8ELj8ELj2Eii21rocsparse_complex_numIfES2_S2_S2_EEvb20rocsparse_direction_T3_S4_llNS_24const_host_device_scalarIT7_EEPKT2_PKS4_PKT4_S4_PKT5_llS7_PT6_ll16rocsparse_order_21rocsparse_index_base_b,@function
_ZN9rocsparseL31bsrmm_large_blockdim_kernel_extILj8ELj8ELj2Eii21rocsparse_complex_numIfES2_S2_S2_EEvb20rocsparse_direction_T3_S4_llNS_24const_host_device_scalarIT7_EEPKT2_PKS4_PKT4_S4_PKT5_llS7_PT6_ll16rocsparse_order_21rocsparse_index_base_b: ; @_ZN9rocsparseL31bsrmm_large_blockdim_kernel_extILj8ELj8ELj2Eii21rocsparse_complex_numIfES2_S2_S2_EEvb20rocsparse_direction_T3_S4_llNS_24const_host_device_scalarIT7_EEPKT2_PKS4_PKT4_S4_PKT5_llS7_PT6_ll16rocsparse_order_21rocsparse_index_base_b
; %bb.0:
	s_clause 0x2
	s_load_b96 s[20:22], s[0:1], 0x80
	s_load_b64 s[2:3], s[0:1], 0x20
	s_load_b64 s[4:5], s[0:1], 0x60
	v_mov_b32_e32 v1, 0
	s_add_nc_u64 s[6:7], s[0:1], 32
	s_add_nc_u64 s[8:9], s[0:1], 0x60
	s_mov_b32 s24, 0
	s_wait_kmcnt 0x0
	s_bitcmp1_b32 s22, 0
	s_cselect_b32 s3, s7, s3
	s_cselect_b32 s2, s6, s2
	;; [unrolled: 1-line block ×4, first 2 shown]
	s_clause 0x1
	flat_load_b64 v[2:3], v1, s[2:3]
	flat_load_b64 v[4:5], v1, s[4:5]
	s_wait_loadcnt_dscnt 0x101
	v_cmp_eq_f32_e32 vcc_lo, 0, v2
	v_cmp_eq_f32_e64 s3, 0, v3
	s_wait_loadcnt_dscnt 0x0
	v_cmp_eq_f32_e64 s4, 1.0, v4
	v_cmp_eq_f32_e64 s2, 0, v5
	s_and_b32 s3, vcc_lo, s3
	s_and_b32 s4, s4, s2
	s_delay_alu instid0(SALU_CYCLE_1) | instskip(NEXT) | instid1(SALU_CYCLE_1)
	s_and_b32 s3, s3, s4
	s_xor_b32 s3, s3, -1
	s_delay_alu instid0(SALU_CYCLE_1)
	s_and_saveexec_b32 s4, s3
	s_cbranch_execz .LBB24_47
; %bb.1:
	s_clause 0x1
	s_load_b128 s[8:11], s[0:1], 0x0
	s_load_b64 s[4:5], s[0:1], 0x28
	s_bfe_u32 s3, ttmp6, 0x4000c
	s_and_b32 s6, ttmp6, 15
	s_add_co_i32 s3, s3, 1
	s_delay_alu instid0(SALU_CYCLE_1)
	s_mul_i32 s7, ttmp9, s3
	s_getreg_b32 s3, hwreg(HW_REG_IB_STS2, 6, 4)
	s_add_co_i32 s6, s6, s7
	s_cmp_eq_u32 s3, 0
	s_cselect_b32 s22, ttmp9, s6
	s_wait_kmcnt 0x0
	s_cmp_lt_i32 s22, s10
	s_cselect_b32 s7, -1, 0
	s_cmp_ge_i32 s22, s10
	s_cbranch_scc1 .LBB24_3
; %bb.2:
	s_ashr_i32 s23, s22, 31
	s_delay_alu instid0(SALU_CYCLE_1) | instskip(NEXT) | instid1(SALU_CYCLE_1)
	s_lshl_b64 s[12:13], s[22:23], 2
	s_add_nc_u64 s[12:13], s[4:5], s[12:13]
	s_load_b32 s6, s[12:13], 0x0
	s_wait_kmcnt 0x0
	s_sub_co_i32 s24, s6, s21
.LBB24_3:
	s_and_not1_b32 vcc_lo, exec_lo, s7
	s_mov_b32 s23, 0
	s_cbranch_vccnz .LBB24_5
; %bb.4:
	s_ashr_i32 s23, s22, 31
	s_delay_alu instid0(SALU_CYCLE_1) | instskip(NEXT) | instid1(SALU_CYCLE_1)
	s_lshl_b64 s[12:13], s[22:23], 2
	s_add_nc_u64 s[4:5], s[4:5], s[12:13]
	s_load_b32 s4, s[4:5], 0x4
	s_wait_kmcnt 0x0
	s_sub_co_i32 s23, s4, s21
.LBB24_5:
	s_bfe_u32 s4, ttmp6, 0x40010
	s_bfe_u32 s5, ttmp6, 0x40004
	s_add_co_i32 s4, s4, 1
	s_load_b32 s10, s[0:1], 0x40
	s_mul_i32 s4, ttmp7, s4
	v_bfe_u32 v6, v0, 10, 10
	s_add_co_i32 s5, s5, s4
	s_cmp_eq_u32 s3, 0
	v_and_b32_e32 v20, 0x3ff, v0
	s_cselect_b32 s3, ttmp7, s5
	s_cmp_ge_i32 s24, s23
	v_lshl_add_u32 v8, s3, 4, v6
	s_delay_alu instid0(VALU_DEP_1) | instskip(SKIP_1) | instid1(VALU_DEP_2)
	v_add_nc_u32_e32 v0, 8, v8
	v_cmp_gt_i32_e64 s3, s11, v8
	v_cmp_gt_i32_e64 s4, s11, v0
	s_wait_kmcnt 0x0
	v_cmp_gt_i32_e32 vcc_lo, s10, v20
	s_cbranch_scc1 .LBB24_23
; %bb.6:
	s_clause 0x1
	s_load_b128 s[12:15], s[0:1], 0x48
	s_load_b128 s[16:19], s[0:1], 0x30
	v_cmp_gt_i32_e64 s5, s10, v6
	v_mad_u32 v7, s10, v6, v20
	v_mad_u32 v10, s10, v20, v6
	v_dual_ashrrev_i32 v9, 31, v8 :: v_dual_lshlrev_b32 v21, 6, v6
	s_and_b32 s26, vcc_lo, s5
	s_bitcmp1_b32 s8, 0
	v_lshl_add_u32 v16, v6, 3, 0x400
	s_cselect_b32 s5, -1, 0
	s_cmp_eq_u32 s9, 0
	v_dual_lshlrev_b32 v17, 6, v20 :: v_dual_lshlrev_b32 v18, 3, v20
	s_cselect_b32 s6, -1, 0
	s_delay_alu instid0(VALU_DEP_4) | instid1(SALU_CYCLE_1)
	v_dual_ashrrev_i32 v1, 31, v0 :: v_dual_cndmask_b32 v22, v7, v10, s6
	v_mov_b64_e32 v[10:11], 0
	v_mov_b64_e32 v[6:7], 0
	v_add_nc_u32_e32 v23, 0x400, v17
	s_wait_kmcnt 0x0
	v_mul_u64_e32 v[12:13], s[14:15], v[8:9]
	v_mul_u64_e32 v[14:15], s[14:15], v[0:1]
	v_add_nc_u32_e32 v24, 0x200, v21
	v_add_nc_u32_e32 v25, v18, v21
	;; [unrolled: 1-line block ×3, first 2 shown]
	s_mul_i32 s6, s10, s10
	s_branch .LBB24_9
.LBB24_7:                               ;   in Loop: Header=BB24_9 Depth=1
	s_or_b32 exec_lo, exec_lo, s9
.LBB24_8:                               ;   in Loop: Header=BB24_9 Depth=1
	s_delay_alu instid0(SALU_CYCLE_1) | instskip(SKIP_1) | instid1(SALU_CYCLE_1)
	s_or_b32 exec_lo, exec_lo, s8
	s_add_co_i32 s24, s24, 1
	s_cmp_ge_i32 s24, s23
	s_barrier_signal -1
	s_barrier_wait -1
	s_cbranch_scc1 .LBB24_24
.LBB24_9:                               ; =>This Loop Header: Depth=1
                                        ;     Child Loop BB24_19 Depth 2
                                        ;     Child Loop BB24_22 Depth 2
	s_and_saveexec_b32 s8, vcc_lo
	s_cbranch_execz .LBB24_14
; %bb.10:                               ;   in Loop: Header=BB24_9 Depth=1
	s_ashr_i32 s25, s24, 31
	s_delay_alu instid0(SALU_CYCLE_1) | instskip(NEXT) | instid1(SALU_CYCLE_1)
	s_lshl_b64 s[28:29], s[24:25], 2
	s_add_nc_u64 s[28:29], s[16:17], s[28:29]
	s_load_b32 s9, s[28:29], 0x0
	s_wait_kmcnt 0x0
	s_sub_co_i32 s9, s9, s21
	s_delay_alu instid0(SALU_CYCLE_1) | instskip(NEXT) | instid1(VALU_DEP_1)
	v_mad_u32 v18, s9, s10, v20
	v_ashrrev_i32_e32 v19, 31, v18
	s_delay_alu instid0(VALU_DEP_1) | instskip(SKIP_1) | instid1(VALU_DEP_2)
	v_mul_u64_e32 v[16:17], s[14:15], v[18:19]
	v_lshl_add_u64 v[18:19], v[18:19], 3, s[12:13]
	v_lshl_add_u64 v[16:17], v[16:17], 3, s[12:13]
	s_and_saveexec_b32 s9, s3
	s_cbranch_execz .LBB24_12
; %bb.11:                               ;   in Loop: Header=BB24_9 Depth=1
	s_delay_alu instid0(VALU_DEP_1) | instskip(SKIP_1) | instid1(VALU_DEP_1)
	v_lshl_add_u64 v[28:29], v[8:9], 3, v[16:17]
	v_lshl_add_u64 v[30:31], v[12:13], 3, v[18:19]
	v_dual_cndmask_b32 v29, v29, v31, s5 :: v_dual_cndmask_b32 v28, v28, v30, s5
	global_load_b64 v[28:29], v[28:29], off
	s_wait_loadcnt 0x0
	ds_store_b64 v25, v[28:29]
.LBB24_12:                              ;   in Loop: Header=BB24_9 Depth=1
	s_or_b32 exec_lo, exec_lo, s9
	s_delay_alu instid0(SALU_CYCLE_1)
	s_and_b32 exec_lo, exec_lo, s4
	s_cbranch_execz .LBB24_14
; %bb.13:                               ;   in Loop: Header=BB24_9 Depth=1
	v_lshl_add_u64 v[18:19], v[14:15], 3, v[18:19]
	v_lshl_add_u64 v[16:17], v[0:1], 3, v[16:17]
	s_delay_alu instid0(VALU_DEP_1)
	v_dual_cndmask_b32 v17, v17, v19, s5 :: v_dual_cndmask_b32 v16, v16, v18, s5
	global_load_b64 v[16:17], v[16:17], off
	s_wait_loadcnt 0x0
	ds_store_b64 v25, v[16:17] offset:512
.LBB24_14:                              ;   in Loop: Header=BB24_9 Depth=1
	s_or_b32 exec_lo, exec_lo, s8
	s_and_saveexec_b32 s8, s26
	s_cbranch_execz .LBB24_16
; %bb.15:                               ;   in Loop: Header=BB24_9 Depth=1
	v_mad_u32 v16, s6, s24, v22
	global_load_b64 v[16:17], v16, s[18:19] scale_offset
	s_wait_loadcnt 0x0
	ds_store_b64 v26, v[16:17]
.LBB24_16:                              ;   in Loop: Header=BB24_9 Depth=1
	s_or_b32 exec_lo, exec_lo, s8
	s_wait_dscnt 0x0
	s_barrier_signal -1
	s_barrier_wait -1
	s_and_saveexec_b32 s8, vcc_lo
	s_cbranch_execz .LBB24_8
; %bb.17:                               ;   in Loop: Header=BB24_9 Depth=1
	s_and_saveexec_b32 s9, s3
	s_cbranch_execz .LBB24_20
; %bb.18:                               ;   in Loop: Header=BB24_9 Depth=1
	v_dual_mov_b32 v16, v23 :: v_dual_mov_b32 v17, v21
	s_mov_b32 s25, s10
.LBB24_19:                              ;   Parent Loop BB24_9 Depth=1
                                        ; =>  This Inner Loop Header: Depth=2
	ds_load_b64 v[18:19], v17
	ds_load_b64 v[28:29], v16
	v_dual_add_nc_u32 v17, 8, v17 :: v_dual_add_nc_u32 v16, 8, v16
	s_add_co_i32 s25, s25, -1
	s_delay_alu instid0(SALU_CYCLE_1) | instskip(SKIP_2) | instid1(VALU_DEP_1)
	s_cmp_lg_u32 s25, 0
	s_wait_dscnt 0x0
	v_pk_fma_f32 v[10:11], v[28:29], v[18:19], v[10:11] op_sel_hi:[1,0,1]
	v_pk_fma_f32 v[10:11], v[28:29], v[18:19], v[10:11] op_sel:[1,1,0] op_sel_hi:[0,1,1] neg_lo:[1,0,0]
	s_cbranch_scc1 .LBB24_19
.LBB24_20:                              ;   in Loop: Header=BB24_9 Depth=1
	s_or_b32 exec_lo, exec_lo, s9
	s_and_saveexec_b32 s9, s4
	s_cbranch_execz .LBB24_7
; %bb.21:                               ;   in Loop: Header=BB24_9 Depth=1
	v_dual_mov_b32 v16, v23 :: v_dual_mov_b32 v17, v24
	s_mov_b32 s25, s10
.LBB24_22:                              ;   Parent Loop BB24_9 Depth=1
                                        ; =>  This Inner Loop Header: Depth=2
	ds_load_b64 v[18:19], v17
	ds_load_b64 v[28:29], v16
	v_dual_add_nc_u32 v17, 8, v17 :: v_dual_add_nc_u32 v16, 8, v16
	s_add_co_i32 s25, s25, -1
	s_delay_alu instid0(SALU_CYCLE_1) | instskip(SKIP_2) | instid1(VALU_DEP_1)
	s_cmp_lg_u32 s25, 0
	s_wait_dscnt 0x0
	v_pk_fma_f32 v[6:7], v[28:29], v[18:19], v[6:7] op_sel_hi:[1,0,1]
	v_pk_fma_f32 v[6:7], v[28:29], v[18:19], v[6:7] op_sel:[1,1,0] op_sel_hi:[0,1,1] neg_lo:[1,0,0]
	s_cbranch_scc1 .LBB24_22
	s_branch .LBB24_7
.LBB24_23:
	v_mov_b64_e32 v[6:7], 0
	v_mov_b64_e32 v[10:11], 0
.LBB24_24:
	s_load_b64 s[4:5], s[0:1], 0x68
	s_and_b32 s3, s7, vcc_lo
	s_delay_alu instid0(SALU_CYCLE_1)
	s_and_b32 exec_lo, exec_lo, s3
	s_cbranch_execz .LBB24_47
; %bb.25:
	s_wait_xcnt 0x0
	s_load_b64 s[0:1], s[0:1], 0x70
	v_mad_u32 v12, s10, s22, v20
	v_cmp_neq_f32_e32 vcc_lo, 0, v4
	s_xor_b32 s2, s2, -1
	s_delay_alu instid0(SALU_CYCLE_1) | instskip(SKIP_2) | instid1(VALU_DEP_2)
	s_or_b32 s2, vcc_lo, s2
	s_cmp_lg_u32 s20, 1
	s_cselect_b32 s3, -1, 0
	v_ashrrev_i32_e32 v13, 31, v12
	s_wait_kmcnt 0x0
	s_delay_alu instid0(VALU_DEP_1) | instskip(SKIP_1) | instid1(VALU_DEP_2)
	v_mul_u64_e32 v[14:15], s[0:1], v[12:13]
	v_lshl_add_u64 v[12:13], v[12:13], 3, s[4:5]
	v_lshl_add_u64 v[14:15], v[14:15], 3, s[4:5]
	s_mov_b32 s4, exec_lo
	v_cmpx_gt_i32_e64 s11, v8
	s_cbranch_execz .LBB24_36
; %bb.26:
	v_ashrrev_i32_e32 v9, 31, v8
	s_and_saveexec_b32 s5, s2
	s_delay_alu instid0(SALU_CYCLE_1)
	s_xor_b32 s5, exec_lo, s5
	s_cbranch_execz .LBB24_31
; %bb.27:
	s_and_b32 vcc_lo, exec_lo, s3
	s_mov_b32 s6, -1
	s_cbranch_vccz .LBB24_29
; %bb.28:
	v_lshl_add_u64 v[16:17], v[8:9], 3, v[14:15]
	v_xor_b32_e32 v20, 0x80000000, v3
	v_dual_mov_b32 v21, v2 :: v_dual_mov_b32 v23, v4
	v_xor_b32_e32 v22, 0x80000000, v5
	global_load_b64 v[18:19], v[16:17], off
	s_mov_b32 s6, 0
	v_pk_mul_f32 v[20:21], v[10:11], v[20:21] op_sel:[1,0]
	s_delay_alu instid0(VALU_DEP_1) | instskip(SKIP_1) | instid1(VALU_DEP_1)
	v_pk_fma_f32 v[20:21], v[2:3], v[10:11], v[20:21] op_sel_hi:[1,0,1]
	s_wait_loadcnt 0x0
	v_pk_fma_f32 v[20:21], v[4:5], v[18:19], v[20:21] op_sel_hi:[1,0,1]
	s_delay_alu instid0(VALU_DEP_1)
	v_pk_fma_f32 v[18:19], v[22:23], v[18:19], v[20:21] op_sel:[0,1,0]
	global_store_b64 v[16:17], v[18:19], off
.LBB24_29:
	s_and_not1_b32 vcc_lo, exec_lo, s6
	s_cbranch_vccnz .LBB24_31
; %bb.30:
	v_mul_u64_e32 v[8:9], s[0:1], v[8:9]
	s_wait_xcnt 0x0
	v_xor_b32_e32 v18, 0x80000000, v3
	v_mov_b32_e32 v19, v2
	s_delay_alu instid0(VALU_DEP_1) | instskip(NEXT) | instid1(VALU_DEP_1)
	v_pk_mul_f32 v[18:19], v[10:11], v[18:19] op_sel:[1,0]
	v_pk_fma_f32 v[10:11], v[2:3], v[10:11], v[18:19] op_sel_hi:[1,0,1]
	v_xor_b32_e32 v18, 0x80000000, v5
	v_mov_b32_e32 v19, v4
	v_lshl_add_u64 v[8:9], v[8:9], 3, v[12:13]
	global_load_b64 v[16:17], v[8:9], off
	s_wait_loadcnt 0x0
	v_pk_fma_f32 v[10:11], v[4:5], v[16:17], v[10:11] op_sel_hi:[1,0,1]
	s_delay_alu instid0(VALU_DEP_1)
	v_pk_fma_f32 v[10:11], v[18:19], v[16:17], v[10:11] op_sel:[0,1,0]
	global_store_b64 v[8:9], v[10:11], off
                                        ; implicit-def: $vgpr10_vgpr11
                                        ; implicit-def: $vgpr8
.LBB24_31:
	s_wait_xcnt 0x0
	s_and_not1_saveexec_b32 s5, s5
	s_cbranch_execz .LBB24_36
; %bb.32:
	v_xor_b32_e32 v16, 0x80000000, v3
	v_mov_b32_e32 v17, v2
	s_and_b32 vcc_lo, exec_lo, s3
	s_mov_b32 s5, -1
	s_delay_alu instid0(VALU_DEP_1) | instskip(NEXT) | instid1(VALU_DEP_1)
	v_pk_mul_f32 v[16:17], v[10:11], v[16:17] op_sel:[1,0]
	v_pk_fma_f32 v[10:11], v[2:3], v[10:11], v[16:17] op_sel_hi:[1,0,1]
	s_cbranch_vccz .LBB24_34
; %bb.33:
	v_lshl_add_u64 v[16:17], v[8:9], 3, v[14:15]
	s_mov_b32 s5, 0
	global_store_b64 v[16:17], v[10:11], off
.LBB24_34:
	s_and_not1_b32 vcc_lo, exec_lo, s5
	s_cbranch_vccnz .LBB24_36
; %bb.35:
	v_mul_u64_e32 v[8:9], s[0:1], v[8:9]
	s_delay_alu instid0(VALU_DEP_1)
	v_lshl_add_u64 v[8:9], v[8:9], 3, v[12:13]
	global_store_b64 v[8:9], v[10:11], off
.LBB24_36:
	s_wait_xcnt 0x0
	s_or_b32 exec_lo, exec_lo, s4
	v_cmp_gt_i32_e32 vcc_lo, s11, v0
	s_and_b32 exec_lo, exec_lo, vcc_lo
	s_cbranch_execz .LBB24_47
; %bb.37:
	v_ashrrev_i32_e32 v1, 31, v0
	v_cndmask_b32_e64 v9, 0, 1, s3
	s_and_saveexec_b32 s3, s2
	s_delay_alu instid0(SALU_CYCLE_1)
	s_xor_b32 s2, exec_lo, s3
	s_cbranch_execz .LBB24_42
; %bb.38:
	s_delay_alu instid0(VALU_DEP_1)
	v_cmp_ne_u32_e32 vcc_lo, 1, v9
	v_xor_b32_e32 v8, 0x80000000, v5
	s_mov_b32 s3, -1
	s_cbranch_vccnz .LBB24_40
; %bb.39:
	v_lshl_add_u64 v[10:11], v[0:1], 3, v[14:15]
	v_xor_b32_e32 v16, 0x80000000, v3
	v_dual_mov_b32 v17, v2 :: v_dual_mov_b32 v9, v4
	s_mov_b32 s3, 0
	global_load_b64 v[14:15], v[10:11], off
	v_pk_mul_f32 v[16:17], v[6:7], v[16:17] op_sel:[1,0]
	s_delay_alu instid0(VALU_DEP_1) | instskip(SKIP_1) | instid1(VALU_DEP_1)
	v_pk_fma_f32 v[16:17], v[2:3], v[6:7], v[16:17] op_sel_hi:[1,0,1]
	s_wait_loadcnt 0x0
	v_pk_fma_f32 v[16:17], v[4:5], v[14:15], v[16:17] op_sel_hi:[1,0,1]
	s_delay_alu instid0(VALU_DEP_1)
	v_pk_fma_f32 v[14:15], v[8:9], v[14:15], v[16:17] op_sel:[0,1,0]
	global_store_b64 v[10:11], v[14:15], off
.LBB24_40:
	s_and_not1_b32 vcc_lo, exec_lo, s3
                                        ; implicit-def: $vgpr9
                                        ; implicit-def: $vgpr14_vgpr15
	s_cbranch_vccnz .LBB24_42
; %bb.41:
	v_mul_u64_e32 v[0:1], s[0:1], v[0:1]
                                        ; implicit-def: $vgpr14_vgpr15
	v_mov_b32_e32 v9, v4
	s_delay_alu instid0(VALU_DEP_2) | instskip(SKIP_4) | instid1(VALU_DEP_1)
	v_lshl_add_u64 v[0:1], v[0:1], 3, v[12:13]
	v_xor_b32_e32 v12, 0x80000000, v3
	v_mov_b32_e32 v13, v2
	global_load_b64 v[10:11], v[0:1], off
	v_pk_mul_f32 v[12:13], v[6:7], v[12:13] op_sel:[1,0]
	v_pk_fma_f32 v[2:3], v[2:3], v[6:7], v[12:13] op_sel_hi:[1,0,1]
                                        ; implicit-def: $vgpr12_vgpr13
                                        ; implicit-def: $vgpr6_vgpr7
	s_wait_loadcnt 0x0
	s_delay_alu instid0(VALU_DEP_1) | instskip(NEXT) | instid1(VALU_DEP_1)
	v_pk_fma_f32 v[2:3], v[4:5], v[10:11], v[2:3] op_sel_hi:[1,0,1]
	v_pk_fma_f32 v[2:3], v[8:9], v[10:11], v[2:3] op_sel:[0,1,0]
                                        ; implicit-def: $vgpr9
	global_store_b64 v[0:1], v[2:3], off
                                        ; implicit-def: $vgpr2_vgpr3
                                        ; implicit-def: $vgpr0
.LBB24_42:
	s_wait_xcnt 0x0
	s_and_not1_saveexec_b32 s2, s2
	s_cbranch_execz .LBB24_47
; %bb.43:
	v_xor_b32_e32 v4, 0x80000000, v3
	v_mov_b32_e32 v5, v2
	v_cmp_ne_u32_e32 vcc_lo, 1, v9
	s_mov_b32 s2, -1
	s_delay_alu instid0(VALU_DEP_2) | instskip(NEXT) | instid1(VALU_DEP_1)
	v_pk_mul_f32 v[4:5], v[6:7], v[4:5] op_sel:[1,0]
	v_pk_fma_f32 v[2:3], v[2:3], v[6:7], v[4:5] op_sel_hi:[1,0,1]
	s_cbranch_vccnz .LBB24_45
; %bb.44:
	v_lshl_add_u64 v[4:5], v[0:1], 3, v[14:15]
	s_mov_b32 s2, 0
	global_store_b64 v[4:5], v[2:3], off
.LBB24_45:
	s_and_not1_b32 vcc_lo, exec_lo, s2
	s_cbranch_vccnz .LBB24_47
; %bb.46:
	v_mul_u64_e32 v[0:1], s[0:1], v[0:1]
	s_delay_alu instid0(VALU_DEP_1)
	v_lshl_add_u64 v[0:1], v[0:1], 3, v[12:13]
	global_store_b64 v[0:1], v[2:3], off
.LBB24_47:
	s_endpgm
	.section	.rodata,"a",@progbits
	.p2align	6, 0x0
	.amdhsa_kernel _ZN9rocsparseL31bsrmm_large_blockdim_kernel_extILj8ELj8ELj2Eii21rocsparse_complex_numIfES2_S2_S2_EEvb20rocsparse_direction_T3_S4_llNS_24const_host_device_scalarIT7_EEPKT2_PKS4_PKT4_S4_PKT5_llS7_PT6_ll16rocsparse_order_21rocsparse_index_base_b
		.amdhsa_group_segment_fixed_size 1536
		.amdhsa_private_segment_fixed_size 0
		.amdhsa_kernarg_size 140
		.amdhsa_user_sgpr_count 2
		.amdhsa_user_sgpr_dispatch_ptr 0
		.amdhsa_user_sgpr_queue_ptr 0
		.amdhsa_user_sgpr_kernarg_segment_ptr 1
		.amdhsa_user_sgpr_dispatch_id 0
		.amdhsa_user_sgpr_kernarg_preload_length 0
		.amdhsa_user_sgpr_kernarg_preload_offset 0
		.amdhsa_user_sgpr_private_segment_size 0
		.amdhsa_wavefront_size32 1
		.amdhsa_uses_dynamic_stack 0
		.amdhsa_enable_private_segment 0
		.amdhsa_system_sgpr_workgroup_id_x 1
		.amdhsa_system_sgpr_workgroup_id_y 1
		.amdhsa_system_sgpr_workgroup_id_z 0
		.amdhsa_system_sgpr_workgroup_info 0
		.amdhsa_system_vgpr_workitem_id 1
		.amdhsa_next_free_vgpr 32
		.amdhsa_next_free_sgpr 30
		.amdhsa_named_barrier_count 0
		.amdhsa_reserve_vcc 1
		.amdhsa_float_round_mode_32 0
		.amdhsa_float_round_mode_16_64 0
		.amdhsa_float_denorm_mode_32 3
		.amdhsa_float_denorm_mode_16_64 3
		.amdhsa_fp16_overflow 0
		.amdhsa_memory_ordered 1
		.amdhsa_forward_progress 1
		.amdhsa_inst_pref_size 16
		.amdhsa_round_robin_scheduling 0
		.amdhsa_exception_fp_ieee_invalid_op 0
		.amdhsa_exception_fp_denorm_src 0
		.amdhsa_exception_fp_ieee_div_zero 0
		.amdhsa_exception_fp_ieee_overflow 0
		.amdhsa_exception_fp_ieee_underflow 0
		.amdhsa_exception_fp_ieee_inexact 0
		.amdhsa_exception_int_div_zero 0
	.end_amdhsa_kernel
	.section	.text._ZN9rocsparseL31bsrmm_large_blockdim_kernel_extILj8ELj8ELj2Eii21rocsparse_complex_numIfES2_S2_S2_EEvb20rocsparse_direction_T3_S4_llNS_24const_host_device_scalarIT7_EEPKT2_PKS4_PKT4_S4_PKT5_llS7_PT6_ll16rocsparse_order_21rocsparse_index_base_b,"axG",@progbits,_ZN9rocsparseL31bsrmm_large_blockdim_kernel_extILj8ELj8ELj2Eii21rocsparse_complex_numIfES2_S2_S2_EEvb20rocsparse_direction_T3_S4_llNS_24const_host_device_scalarIT7_EEPKT2_PKS4_PKT4_S4_PKT5_llS7_PT6_ll16rocsparse_order_21rocsparse_index_base_b,comdat
.Lfunc_end24:
	.size	_ZN9rocsparseL31bsrmm_large_blockdim_kernel_extILj8ELj8ELj2Eii21rocsparse_complex_numIfES2_S2_S2_EEvb20rocsparse_direction_T3_S4_llNS_24const_host_device_scalarIT7_EEPKT2_PKS4_PKT4_S4_PKT5_llS7_PT6_ll16rocsparse_order_21rocsparse_index_base_b, .Lfunc_end24-_ZN9rocsparseL31bsrmm_large_blockdim_kernel_extILj8ELj8ELj2Eii21rocsparse_complex_numIfES2_S2_S2_EEvb20rocsparse_direction_T3_S4_llNS_24const_host_device_scalarIT7_EEPKT2_PKS4_PKT4_S4_PKT5_llS7_PT6_ll16rocsparse_order_21rocsparse_index_base_b
                                        ; -- End function
	.set _ZN9rocsparseL31bsrmm_large_blockdim_kernel_extILj8ELj8ELj2Eii21rocsparse_complex_numIfES2_S2_S2_EEvb20rocsparse_direction_T3_S4_llNS_24const_host_device_scalarIT7_EEPKT2_PKS4_PKT4_S4_PKT5_llS7_PT6_ll16rocsparse_order_21rocsparse_index_base_b.num_vgpr, 32
	.set _ZN9rocsparseL31bsrmm_large_blockdim_kernel_extILj8ELj8ELj2Eii21rocsparse_complex_numIfES2_S2_S2_EEvb20rocsparse_direction_T3_S4_llNS_24const_host_device_scalarIT7_EEPKT2_PKS4_PKT4_S4_PKT5_llS7_PT6_ll16rocsparse_order_21rocsparse_index_base_b.num_agpr, 0
	.set _ZN9rocsparseL31bsrmm_large_blockdim_kernel_extILj8ELj8ELj2Eii21rocsparse_complex_numIfES2_S2_S2_EEvb20rocsparse_direction_T3_S4_llNS_24const_host_device_scalarIT7_EEPKT2_PKS4_PKT4_S4_PKT5_llS7_PT6_ll16rocsparse_order_21rocsparse_index_base_b.numbered_sgpr, 30
	.set _ZN9rocsparseL31bsrmm_large_blockdim_kernel_extILj8ELj8ELj2Eii21rocsparse_complex_numIfES2_S2_S2_EEvb20rocsparse_direction_T3_S4_llNS_24const_host_device_scalarIT7_EEPKT2_PKS4_PKT4_S4_PKT5_llS7_PT6_ll16rocsparse_order_21rocsparse_index_base_b.num_named_barrier, 0
	.set _ZN9rocsparseL31bsrmm_large_blockdim_kernel_extILj8ELj8ELj2Eii21rocsparse_complex_numIfES2_S2_S2_EEvb20rocsparse_direction_T3_S4_llNS_24const_host_device_scalarIT7_EEPKT2_PKS4_PKT4_S4_PKT5_llS7_PT6_ll16rocsparse_order_21rocsparse_index_base_b.private_seg_size, 0
	.set _ZN9rocsparseL31bsrmm_large_blockdim_kernel_extILj8ELj8ELj2Eii21rocsparse_complex_numIfES2_S2_S2_EEvb20rocsparse_direction_T3_S4_llNS_24const_host_device_scalarIT7_EEPKT2_PKS4_PKT4_S4_PKT5_llS7_PT6_ll16rocsparse_order_21rocsparse_index_base_b.uses_vcc, 1
	.set _ZN9rocsparseL31bsrmm_large_blockdim_kernel_extILj8ELj8ELj2Eii21rocsparse_complex_numIfES2_S2_S2_EEvb20rocsparse_direction_T3_S4_llNS_24const_host_device_scalarIT7_EEPKT2_PKS4_PKT4_S4_PKT5_llS7_PT6_ll16rocsparse_order_21rocsparse_index_base_b.uses_flat_scratch, 1
	.set _ZN9rocsparseL31bsrmm_large_blockdim_kernel_extILj8ELj8ELj2Eii21rocsparse_complex_numIfES2_S2_S2_EEvb20rocsparse_direction_T3_S4_llNS_24const_host_device_scalarIT7_EEPKT2_PKS4_PKT4_S4_PKT5_llS7_PT6_ll16rocsparse_order_21rocsparse_index_base_b.has_dyn_sized_stack, 0
	.set _ZN9rocsparseL31bsrmm_large_blockdim_kernel_extILj8ELj8ELj2Eii21rocsparse_complex_numIfES2_S2_S2_EEvb20rocsparse_direction_T3_S4_llNS_24const_host_device_scalarIT7_EEPKT2_PKS4_PKT4_S4_PKT5_llS7_PT6_ll16rocsparse_order_21rocsparse_index_base_b.has_recursion, 0
	.set _ZN9rocsparseL31bsrmm_large_blockdim_kernel_extILj8ELj8ELj2Eii21rocsparse_complex_numIfES2_S2_S2_EEvb20rocsparse_direction_T3_S4_llNS_24const_host_device_scalarIT7_EEPKT2_PKS4_PKT4_S4_PKT5_llS7_PT6_ll16rocsparse_order_21rocsparse_index_base_b.has_indirect_call, 0
	.section	.AMDGPU.csdata,"",@progbits
; Kernel info:
; codeLenInByte = 1984
; TotalNumSgprs: 32
; NumVgprs: 32
; ScratchSize: 0
; MemoryBound: 0
; FloatMode: 240
; IeeeMode: 1
; LDSByteSize: 1536 bytes/workgroup (compile time only)
; SGPRBlocks: 0
; VGPRBlocks: 1
; NumSGPRsForWavesPerEU: 32
; NumVGPRsForWavesPerEU: 32
; NamedBarCnt: 0
; Occupancy: 16
; WaveLimiterHint : 1
; COMPUTE_PGM_RSRC2:SCRATCH_EN: 0
; COMPUTE_PGM_RSRC2:USER_SGPR: 2
; COMPUTE_PGM_RSRC2:TRAP_HANDLER: 0
; COMPUTE_PGM_RSRC2:TGID_X_EN: 1
; COMPUTE_PGM_RSRC2:TGID_Y_EN: 1
; COMPUTE_PGM_RSRC2:TGID_Z_EN: 0
; COMPUTE_PGM_RSRC2:TIDIG_COMP_CNT: 1
	.section	.text._ZN9rocsparseL31bsrmm_large_blockdim_kernel_extILj4ELj16ELj2Eii21rocsparse_complex_numIfES2_S2_S2_EEvb20rocsparse_direction_T3_S4_llNS_24const_host_device_scalarIT7_EEPKT2_PKS4_PKT4_S4_PKT5_llS7_PT6_ll16rocsparse_order_21rocsparse_index_base_b,"axG",@progbits,_ZN9rocsparseL31bsrmm_large_blockdim_kernel_extILj4ELj16ELj2Eii21rocsparse_complex_numIfES2_S2_S2_EEvb20rocsparse_direction_T3_S4_llNS_24const_host_device_scalarIT7_EEPKT2_PKS4_PKT4_S4_PKT5_llS7_PT6_ll16rocsparse_order_21rocsparse_index_base_b,comdat
	.globl	_ZN9rocsparseL31bsrmm_large_blockdim_kernel_extILj4ELj16ELj2Eii21rocsparse_complex_numIfES2_S2_S2_EEvb20rocsparse_direction_T3_S4_llNS_24const_host_device_scalarIT7_EEPKT2_PKS4_PKT4_S4_PKT5_llS7_PT6_ll16rocsparse_order_21rocsparse_index_base_b ; -- Begin function _ZN9rocsparseL31bsrmm_large_blockdim_kernel_extILj4ELj16ELj2Eii21rocsparse_complex_numIfES2_S2_S2_EEvb20rocsparse_direction_T3_S4_llNS_24const_host_device_scalarIT7_EEPKT2_PKS4_PKT4_S4_PKT5_llS7_PT6_ll16rocsparse_order_21rocsparse_index_base_b
	.p2align	8
	.type	_ZN9rocsparseL31bsrmm_large_blockdim_kernel_extILj4ELj16ELj2Eii21rocsparse_complex_numIfES2_S2_S2_EEvb20rocsparse_direction_T3_S4_llNS_24const_host_device_scalarIT7_EEPKT2_PKS4_PKT4_S4_PKT5_llS7_PT6_ll16rocsparse_order_21rocsparse_index_base_b,@function
_ZN9rocsparseL31bsrmm_large_blockdim_kernel_extILj4ELj16ELj2Eii21rocsparse_complex_numIfES2_S2_S2_EEvb20rocsparse_direction_T3_S4_llNS_24const_host_device_scalarIT7_EEPKT2_PKS4_PKT4_S4_PKT5_llS7_PT6_ll16rocsparse_order_21rocsparse_index_base_b: ; @_ZN9rocsparseL31bsrmm_large_blockdim_kernel_extILj4ELj16ELj2Eii21rocsparse_complex_numIfES2_S2_S2_EEvb20rocsparse_direction_T3_S4_llNS_24const_host_device_scalarIT7_EEPKT2_PKS4_PKT4_S4_PKT5_llS7_PT6_ll16rocsparse_order_21rocsparse_index_base_b
; %bb.0:
	s_clause 0x2
	s_load_b96 s[20:22], s[0:1], 0x80
	s_load_b64 s[2:3], s[0:1], 0x20
	s_load_b64 s[4:5], s[0:1], 0x60
	v_mov_b32_e32 v1, 0
	s_add_nc_u64 s[6:7], s[0:1], 32
	s_add_nc_u64 s[8:9], s[0:1], 0x60
	s_mov_b32 s24, 0
	s_wait_kmcnt 0x0
	s_bitcmp1_b32 s22, 0
	s_cselect_b32 s3, s7, s3
	s_cselect_b32 s2, s6, s2
	;; [unrolled: 1-line block ×4, first 2 shown]
	s_clause 0x1
	flat_load_b64 v[2:3], v1, s[2:3]
	flat_load_b64 v[4:5], v1, s[4:5]
	s_wait_loadcnt_dscnt 0x101
	v_cmp_eq_f32_e32 vcc_lo, 0, v2
	v_cmp_eq_f32_e64 s3, 0, v3
	s_wait_loadcnt_dscnt 0x0
	v_cmp_eq_f32_e64 s4, 1.0, v4
	v_cmp_eq_f32_e64 s2, 0, v5
	s_and_b32 s3, vcc_lo, s3
	s_and_b32 s4, s4, s2
	s_delay_alu instid0(SALU_CYCLE_1) | instskip(NEXT) | instid1(SALU_CYCLE_1)
	s_and_b32 s3, s3, s4
	s_xor_b32 s3, s3, -1
	s_delay_alu instid0(SALU_CYCLE_1)
	s_and_saveexec_b32 s4, s3
	s_cbranch_execz .LBB25_47
; %bb.1:
	s_clause 0x1
	s_load_b128 s[8:11], s[0:1], 0x0
	s_load_b64 s[4:5], s[0:1], 0x28
	s_bfe_u32 s3, ttmp6, 0x4000c
	s_and_b32 s6, ttmp6, 15
	s_add_co_i32 s3, s3, 1
	s_delay_alu instid0(SALU_CYCLE_1)
	s_mul_i32 s7, ttmp9, s3
	s_getreg_b32 s3, hwreg(HW_REG_IB_STS2, 6, 4)
	s_add_co_i32 s6, s6, s7
	s_cmp_eq_u32 s3, 0
	s_cselect_b32 s22, ttmp9, s6
	s_wait_kmcnt 0x0
	s_cmp_lt_i32 s22, s10
	s_cselect_b32 s7, -1, 0
	s_cmp_ge_i32 s22, s10
	s_cbranch_scc1 .LBB25_3
; %bb.2:
	s_ashr_i32 s23, s22, 31
	s_delay_alu instid0(SALU_CYCLE_1) | instskip(NEXT) | instid1(SALU_CYCLE_1)
	s_lshl_b64 s[12:13], s[22:23], 2
	s_add_nc_u64 s[12:13], s[4:5], s[12:13]
	s_load_b32 s6, s[12:13], 0x0
	s_wait_kmcnt 0x0
	s_sub_co_i32 s24, s6, s21
.LBB25_3:
	s_and_not1_b32 vcc_lo, exec_lo, s7
	s_mov_b32 s23, 0
	s_cbranch_vccnz .LBB25_5
; %bb.4:
	s_ashr_i32 s23, s22, 31
	s_delay_alu instid0(SALU_CYCLE_1) | instskip(NEXT) | instid1(SALU_CYCLE_1)
	s_lshl_b64 s[12:13], s[22:23], 2
	s_add_nc_u64 s[4:5], s[4:5], s[12:13]
	s_load_b32 s4, s[4:5], 0x4
	s_wait_kmcnt 0x0
	s_sub_co_i32 s23, s4, s21
.LBB25_5:
	s_bfe_u32 s4, ttmp6, 0x40010
	s_bfe_u32 s5, ttmp6, 0x40004
	s_add_co_i32 s4, s4, 1
	s_load_b32 s10, s[0:1], 0x40
	s_mul_i32 s4, ttmp7, s4
	v_bfe_u32 v6, v0, 10, 10
	s_add_co_i32 s5, s5, s4
	s_cmp_eq_u32 s3, 0
	v_and_b32_e32 v20, 0x3ff, v0
	s_cselect_b32 s3, ttmp7, s5
	s_cmp_ge_i32 s24, s23
	v_lshl_add_u32 v8, s3, 5, v6
	s_delay_alu instid0(VALU_DEP_1) | instskip(SKIP_1) | instid1(VALU_DEP_2)
	v_add_nc_u32_e32 v0, 16, v8
	v_cmp_gt_i32_e64 s3, s11, v8
	v_cmp_gt_i32_e64 s4, s11, v0
	s_wait_kmcnt 0x0
	v_cmp_gt_i32_e32 vcc_lo, s10, v20
	s_cbranch_scc1 .LBB25_23
; %bb.6:
	s_clause 0x1
	s_load_b128 s[12:15], s[0:1], 0x48
	s_load_b128 s[16:19], s[0:1], 0x30
	v_cmp_gt_i32_e64 s5, s10, v6
	v_mad_u32 v7, s10, v6, v20
	v_mad_u32 v10, s10, v20, v6
	v_dual_ashrrev_i32 v9, 31, v8 :: v_dual_lshlrev_b32 v21, 5, v6
	s_and_b32 s26, vcc_lo, s5
	s_bitcmp1_b32 s8, 0
	v_lshl_add_u32 v16, v6, 3, 0x400
	s_cselect_b32 s5, -1, 0
	s_cmp_eq_u32 s9, 0
	v_dual_lshlrev_b32 v17, 5, v20 :: v_dual_lshlrev_b32 v18, 3, v20
	s_cselect_b32 s6, -1, 0
	s_delay_alu instid0(VALU_DEP_4) | instid1(SALU_CYCLE_1)
	v_dual_ashrrev_i32 v1, 31, v0 :: v_dual_cndmask_b32 v22, v7, v10, s6
	v_mov_b64_e32 v[10:11], 0
	v_mov_b64_e32 v[6:7], 0
	v_add_nc_u32_e32 v23, 0x400, v17
	s_wait_kmcnt 0x0
	v_mul_u64_e32 v[12:13], s[14:15], v[8:9]
	v_mul_u64_e32 v[14:15], s[14:15], v[0:1]
	v_add_nc_u32_e32 v24, 0x200, v21
	v_add_nc_u32_e32 v25, v18, v21
	;; [unrolled: 1-line block ×3, first 2 shown]
	s_mul_i32 s6, s10, s10
	s_branch .LBB25_9
.LBB25_7:                               ;   in Loop: Header=BB25_9 Depth=1
	s_or_b32 exec_lo, exec_lo, s9
.LBB25_8:                               ;   in Loop: Header=BB25_9 Depth=1
	s_delay_alu instid0(SALU_CYCLE_1) | instskip(SKIP_1) | instid1(SALU_CYCLE_1)
	s_or_b32 exec_lo, exec_lo, s8
	s_add_co_i32 s24, s24, 1
	s_cmp_ge_i32 s24, s23
	s_barrier_signal -1
	s_barrier_wait -1
	s_cbranch_scc1 .LBB25_24
.LBB25_9:                               ; =>This Loop Header: Depth=1
                                        ;     Child Loop BB25_19 Depth 2
                                        ;     Child Loop BB25_22 Depth 2
	s_and_saveexec_b32 s8, vcc_lo
	s_cbranch_execz .LBB25_14
; %bb.10:                               ;   in Loop: Header=BB25_9 Depth=1
	s_ashr_i32 s25, s24, 31
	s_delay_alu instid0(SALU_CYCLE_1) | instskip(NEXT) | instid1(SALU_CYCLE_1)
	s_lshl_b64 s[28:29], s[24:25], 2
	s_add_nc_u64 s[28:29], s[16:17], s[28:29]
	s_load_b32 s9, s[28:29], 0x0
	s_wait_kmcnt 0x0
	s_sub_co_i32 s9, s9, s21
	s_delay_alu instid0(SALU_CYCLE_1) | instskip(NEXT) | instid1(VALU_DEP_1)
	v_mad_u32 v18, s9, s10, v20
	v_ashrrev_i32_e32 v19, 31, v18
	s_delay_alu instid0(VALU_DEP_1) | instskip(SKIP_1) | instid1(VALU_DEP_2)
	v_mul_u64_e32 v[16:17], s[14:15], v[18:19]
	v_lshl_add_u64 v[18:19], v[18:19], 3, s[12:13]
	v_lshl_add_u64 v[16:17], v[16:17], 3, s[12:13]
	s_and_saveexec_b32 s9, s3
	s_cbranch_execz .LBB25_12
; %bb.11:                               ;   in Loop: Header=BB25_9 Depth=1
	s_delay_alu instid0(VALU_DEP_1) | instskip(SKIP_1) | instid1(VALU_DEP_1)
	v_lshl_add_u64 v[28:29], v[8:9], 3, v[16:17]
	v_lshl_add_u64 v[30:31], v[12:13], 3, v[18:19]
	v_dual_cndmask_b32 v29, v29, v31, s5 :: v_dual_cndmask_b32 v28, v28, v30, s5
	global_load_b64 v[28:29], v[28:29], off
	s_wait_loadcnt 0x0
	ds_store_b64 v25, v[28:29]
.LBB25_12:                              ;   in Loop: Header=BB25_9 Depth=1
	s_or_b32 exec_lo, exec_lo, s9
	s_delay_alu instid0(SALU_CYCLE_1)
	s_and_b32 exec_lo, exec_lo, s4
	s_cbranch_execz .LBB25_14
; %bb.13:                               ;   in Loop: Header=BB25_9 Depth=1
	v_lshl_add_u64 v[18:19], v[14:15], 3, v[18:19]
	v_lshl_add_u64 v[16:17], v[0:1], 3, v[16:17]
	s_delay_alu instid0(VALU_DEP_1)
	v_dual_cndmask_b32 v17, v17, v19, s5 :: v_dual_cndmask_b32 v16, v16, v18, s5
	global_load_b64 v[16:17], v[16:17], off
	s_wait_loadcnt 0x0
	ds_store_b64 v25, v[16:17] offset:512
.LBB25_14:                              ;   in Loop: Header=BB25_9 Depth=1
	s_or_b32 exec_lo, exec_lo, s8
	s_and_saveexec_b32 s8, s26
	s_cbranch_execz .LBB25_16
; %bb.15:                               ;   in Loop: Header=BB25_9 Depth=1
	v_mad_u32 v16, s6, s24, v22
	global_load_b64 v[16:17], v16, s[18:19] scale_offset
	s_wait_loadcnt 0x0
	ds_store_b64 v26, v[16:17]
.LBB25_16:                              ;   in Loop: Header=BB25_9 Depth=1
	s_or_b32 exec_lo, exec_lo, s8
	s_wait_dscnt 0x0
	s_barrier_signal -1
	s_barrier_wait -1
	s_and_saveexec_b32 s8, vcc_lo
	s_cbranch_execz .LBB25_8
; %bb.17:                               ;   in Loop: Header=BB25_9 Depth=1
	s_and_saveexec_b32 s9, s3
	s_cbranch_execz .LBB25_20
; %bb.18:                               ;   in Loop: Header=BB25_9 Depth=1
	v_dual_mov_b32 v16, v23 :: v_dual_mov_b32 v17, v21
	s_mov_b32 s25, s10
.LBB25_19:                              ;   Parent Loop BB25_9 Depth=1
                                        ; =>  This Inner Loop Header: Depth=2
	ds_load_b64 v[18:19], v17
	ds_load_b64 v[28:29], v16
	v_dual_add_nc_u32 v17, 8, v17 :: v_dual_add_nc_u32 v16, 8, v16
	s_add_co_i32 s25, s25, -1
	s_delay_alu instid0(SALU_CYCLE_1) | instskip(SKIP_2) | instid1(VALU_DEP_1)
	s_cmp_lg_u32 s25, 0
	s_wait_dscnt 0x0
	v_pk_fma_f32 v[10:11], v[28:29], v[18:19], v[10:11] op_sel_hi:[1,0,1]
	v_pk_fma_f32 v[10:11], v[28:29], v[18:19], v[10:11] op_sel:[1,1,0] op_sel_hi:[0,1,1] neg_lo:[1,0,0]
	s_cbranch_scc1 .LBB25_19
.LBB25_20:                              ;   in Loop: Header=BB25_9 Depth=1
	s_or_b32 exec_lo, exec_lo, s9
	s_and_saveexec_b32 s9, s4
	s_cbranch_execz .LBB25_7
; %bb.21:                               ;   in Loop: Header=BB25_9 Depth=1
	v_dual_mov_b32 v16, v23 :: v_dual_mov_b32 v17, v24
	s_mov_b32 s25, s10
.LBB25_22:                              ;   Parent Loop BB25_9 Depth=1
                                        ; =>  This Inner Loop Header: Depth=2
	ds_load_b64 v[18:19], v17
	ds_load_b64 v[28:29], v16
	v_dual_add_nc_u32 v17, 8, v17 :: v_dual_add_nc_u32 v16, 8, v16
	s_add_co_i32 s25, s25, -1
	s_delay_alu instid0(SALU_CYCLE_1) | instskip(SKIP_2) | instid1(VALU_DEP_1)
	s_cmp_lg_u32 s25, 0
	s_wait_dscnt 0x0
	v_pk_fma_f32 v[6:7], v[28:29], v[18:19], v[6:7] op_sel_hi:[1,0,1]
	v_pk_fma_f32 v[6:7], v[28:29], v[18:19], v[6:7] op_sel:[1,1,0] op_sel_hi:[0,1,1] neg_lo:[1,0,0]
	s_cbranch_scc1 .LBB25_22
	s_branch .LBB25_7
.LBB25_23:
	v_mov_b64_e32 v[6:7], 0
	v_mov_b64_e32 v[10:11], 0
.LBB25_24:
	s_load_b64 s[4:5], s[0:1], 0x68
	s_and_b32 s3, s7, vcc_lo
	s_delay_alu instid0(SALU_CYCLE_1)
	s_and_b32 exec_lo, exec_lo, s3
	s_cbranch_execz .LBB25_47
; %bb.25:
	s_wait_xcnt 0x0
	s_load_b64 s[0:1], s[0:1], 0x70
	v_mad_u32 v12, s10, s22, v20
	v_cmp_neq_f32_e32 vcc_lo, 0, v4
	s_xor_b32 s2, s2, -1
	s_delay_alu instid0(SALU_CYCLE_1) | instskip(SKIP_2) | instid1(VALU_DEP_2)
	s_or_b32 s2, vcc_lo, s2
	s_cmp_lg_u32 s20, 1
	s_cselect_b32 s3, -1, 0
	v_ashrrev_i32_e32 v13, 31, v12
	s_wait_kmcnt 0x0
	s_delay_alu instid0(VALU_DEP_1) | instskip(SKIP_1) | instid1(VALU_DEP_2)
	v_mul_u64_e32 v[14:15], s[0:1], v[12:13]
	v_lshl_add_u64 v[12:13], v[12:13], 3, s[4:5]
	v_lshl_add_u64 v[14:15], v[14:15], 3, s[4:5]
	s_mov_b32 s4, exec_lo
	v_cmpx_gt_i32_e64 s11, v8
	s_cbranch_execz .LBB25_36
; %bb.26:
	v_ashrrev_i32_e32 v9, 31, v8
	s_and_saveexec_b32 s5, s2
	s_delay_alu instid0(SALU_CYCLE_1)
	s_xor_b32 s5, exec_lo, s5
	s_cbranch_execz .LBB25_31
; %bb.27:
	s_and_b32 vcc_lo, exec_lo, s3
	s_mov_b32 s6, -1
	s_cbranch_vccz .LBB25_29
; %bb.28:
	v_lshl_add_u64 v[16:17], v[8:9], 3, v[14:15]
	v_xor_b32_e32 v20, 0x80000000, v3
	v_dual_mov_b32 v21, v2 :: v_dual_mov_b32 v23, v4
	v_xor_b32_e32 v22, 0x80000000, v5
	global_load_b64 v[18:19], v[16:17], off
	s_mov_b32 s6, 0
	v_pk_mul_f32 v[20:21], v[10:11], v[20:21] op_sel:[1,0]
	s_delay_alu instid0(VALU_DEP_1) | instskip(SKIP_1) | instid1(VALU_DEP_1)
	v_pk_fma_f32 v[20:21], v[2:3], v[10:11], v[20:21] op_sel_hi:[1,0,1]
	s_wait_loadcnt 0x0
	v_pk_fma_f32 v[20:21], v[4:5], v[18:19], v[20:21] op_sel_hi:[1,0,1]
	s_delay_alu instid0(VALU_DEP_1)
	v_pk_fma_f32 v[18:19], v[22:23], v[18:19], v[20:21] op_sel:[0,1,0]
	global_store_b64 v[16:17], v[18:19], off
.LBB25_29:
	s_and_not1_b32 vcc_lo, exec_lo, s6
	s_cbranch_vccnz .LBB25_31
; %bb.30:
	v_mul_u64_e32 v[8:9], s[0:1], v[8:9]
	s_wait_xcnt 0x0
	v_xor_b32_e32 v18, 0x80000000, v3
	v_mov_b32_e32 v19, v2
	s_delay_alu instid0(VALU_DEP_1) | instskip(NEXT) | instid1(VALU_DEP_1)
	v_pk_mul_f32 v[18:19], v[10:11], v[18:19] op_sel:[1,0]
	v_pk_fma_f32 v[10:11], v[2:3], v[10:11], v[18:19] op_sel_hi:[1,0,1]
	v_xor_b32_e32 v18, 0x80000000, v5
	v_mov_b32_e32 v19, v4
	v_lshl_add_u64 v[8:9], v[8:9], 3, v[12:13]
	global_load_b64 v[16:17], v[8:9], off
	s_wait_loadcnt 0x0
	v_pk_fma_f32 v[10:11], v[4:5], v[16:17], v[10:11] op_sel_hi:[1,0,1]
	s_delay_alu instid0(VALU_DEP_1)
	v_pk_fma_f32 v[10:11], v[18:19], v[16:17], v[10:11] op_sel:[0,1,0]
	global_store_b64 v[8:9], v[10:11], off
                                        ; implicit-def: $vgpr10_vgpr11
                                        ; implicit-def: $vgpr8
.LBB25_31:
	s_wait_xcnt 0x0
	s_and_not1_saveexec_b32 s5, s5
	s_cbranch_execz .LBB25_36
; %bb.32:
	v_xor_b32_e32 v16, 0x80000000, v3
	v_mov_b32_e32 v17, v2
	s_and_b32 vcc_lo, exec_lo, s3
	s_mov_b32 s5, -1
	s_delay_alu instid0(VALU_DEP_1) | instskip(NEXT) | instid1(VALU_DEP_1)
	v_pk_mul_f32 v[16:17], v[10:11], v[16:17] op_sel:[1,0]
	v_pk_fma_f32 v[10:11], v[2:3], v[10:11], v[16:17] op_sel_hi:[1,0,1]
	s_cbranch_vccz .LBB25_34
; %bb.33:
	v_lshl_add_u64 v[16:17], v[8:9], 3, v[14:15]
	s_mov_b32 s5, 0
	global_store_b64 v[16:17], v[10:11], off
.LBB25_34:
	s_and_not1_b32 vcc_lo, exec_lo, s5
	s_cbranch_vccnz .LBB25_36
; %bb.35:
	v_mul_u64_e32 v[8:9], s[0:1], v[8:9]
	s_delay_alu instid0(VALU_DEP_1)
	v_lshl_add_u64 v[8:9], v[8:9], 3, v[12:13]
	global_store_b64 v[8:9], v[10:11], off
.LBB25_36:
	s_wait_xcnt 0x0
	s_or_b32 exec_lo, exec_lo, s4
	v_cmp_gt_i32_e32 vcc_lo, s11, v0
	s_and_b32 exec_lo, exec_lo, vcc_lo
	s_cbranch_execz .LBB25_47
; %bb.37:
	v_ashrrev_i32_e32 v1, 31, v0
	v_cndmask_b32_e64 v9, 0, 1, s3
	s_and_saveexec_b32 s3, s2
	s_delay_alu instid0(SALU_CYCLE_1)
	s_xor_b32 s2, exec_lo, s3
	s_cbranch_execz .LBB25_42
; %bb.38:
	s_delay_alu instid0(VALU_DEP_1)
	v_cmp_ne_u32_e32 vcc_lo, 1, v9
	v_xor_b32_e32 v8, 0x80000000, v5
	s_mov_b32 s3, -1
	s_cbranch_vccnz .LBB25_40
; %bb.39:
	v_lshl_add_u64 v[10:11], v[0:1], 3, v[14:15]
	v_xor_b32_e32 v16, 0x80000000, v3
	v_dual_mov_b32 v17, v2 :: v_dual_mov_b32 v9, v4
	s_mov_b32 s3, 0
	global_load_b64 v[14:15], v[10:11], off
	v_pk_mul_f32 v[16:17], v[6:7], v[16:17] op_sel:[1,0]
	s_delay_alu instid0(VALU_DEP_1) | instskip(SKIP_1) | instid1(VALU_DEP_1)
	v_pk_fma_f32 v[16:17], v[2:3], v[6:7], v[16:17] op_sel_hi:[1,0,1]
	s_wait_loadcnt 0x0
	v_pk_fma_f32 v[16:17], v[4:5], v[14:15], v[16:17] op_sel_hi:[1,0,1]
	s_delay_alu instid0(VALU_DEP_1)
	v_pk_fma_f32 v[14:15], v[8:9], v[14:15], v[16:17] op_sel:[0,1,0]
	global_store_b64 v[10:11], v[14:15], off
.LBB25_40:
	s_and_not1_b32 vcc_lo, exec_lo, s3
                                        ; implicit-def: $vgpr9
                                        ; implicit-def: $vgpr14_vgpr15
	s_cbranch_vccnz .LBB25_42
; %bb.41:
	v_mul_u64_e32 v[0:1], s[0:1], v[0:1]
                                        ; implicit-def: $vgpr14_vgpr15
	v_mov_b32_e32 v9, v4
	s_delay_alu instid0(VALU_DEP_2) | instskip(SKIP_4) | instid1(VALU_DEP_1)
	v_lshl_add_u64 v[0:1], v[0:1], 3, v[12:13]
	v_xor_b32_e32 v12, 0x80000000, v3
	v_mov_b32_e32 v13, v2
	global_load_b64 v[10:11], v[0:1], off
	v_pk_mul_f32 v[12:13], v[6:7], v[12:13] op_sel:[1,0]
	v_pk_fma_f32 v[2:3], v[2:3], v[6:7], v[12:13] op_sel_hi:[1,0,1]
                                        ; implicit-def: $vgpr12_vgpr13
                                        ; implicit-def: $vgpr6_vgpr7
	s_wait_loadcnt 0x0
	s_delay_alu instid0(VALU_DEP_1) | instskip(NEXT) | instid1(VALU_DEP_1)
	v_pk_fma_f32 v[2:3], v[4:5], v[10:11], v[2:3] op_sel_hi:[1,0,1]
	v_pk_fma_f32 v[2:3], v[8:9], v[10:11], v[2:3] op_sel:[0,1,0]
                                        ; implicit-def: $vgpr9
	global_store_b64 v[0:1], v[2:3], off
                                        ; implicit-def: $vgpr2_vgpr3
                                        ; implicit-def: $vgpr0
.LBB25_42:
	s_wait_xcnt 0x0
	s_and_not1_saveexec_b32 s2, s2
	s_cbranch_execz .LBB25_47
; %bb.43:
	v_xor_b32_e32 v4, 0x80000000, v3
	v_mov_b32_e32 v5, v2
	v_cmp_ne_u32_e32 vcc_lo, 1, v9
	s_mov_b32 s2, -1
	s_delay_alu instid0(VALU_DEP_2) | instskip(NEXT) | instid1(VALU_DEP_1)
	v_pk_mul_f32 v[4:5], v[6:7], v[4:5] op_sel:[1,0]
	v_pk_fma_f32 v[2:3], v[2:3], v[6:7], v[4:5] op_sel_hi:[1,0,1]
	s_cbranch_vccnz .LBB25_45
; %bb.44:
	v_lshl_add_u64 v[4:5], v[0:1], 3, v[14:15]
	s_mov_b32 s2, 0
	global_store_b64 v[4:5], v[2:3], off
.LBB25_45:
	s_and_not1_b32 vcc_lo, exec_lo, s2
	s_cbranch_vccnz .LBB25_47
; %bb.46:
	v_mul_u64_e32 v[0:1], s[0:1], v[0:1]
	s_delay_alu instid0(VALU_DEP_1)
	v_lshl_add_u64 v[0:1], v[0:1], 3, v[12:13]
	global_store_b64 v[0:1], v[2:3], off
.LBB25_47:
	s_endpgm
	.section	.rodata,"a",@progbits
	.p2align	6, 0x0
	.amdhsa_kernel _ZN9rocsparseL31bsrmm_large_blockdim_kernel_extILj4ELj16ELj2Eii21rocsparse_complex_numIfES2_S2_S2_EEvb20rocsparse_direction_T3_S4_llNS_24const_host_device_scalarIT7_EEPKT2_PKS4_PKT4_S4_PKT5_llS7_PT6_ll16rocsparse_order_21rocsparse_index_base_b
		.amdhsa_group_segment_fixed_size 1152
		.amdhsa_private_segment_fixed_size 0
		.amdhsa_kernarg_size 140
		.amdhsa_user_sgpr_count 2
		.amdhsa_user_sgpr_dispatch_ptr 0
		.amdhsa_user_sgpr_queue_ptr 0
		.amdhsa_user_sgpr_kernarg_segment_ptr 1
		.amdhsa_user_sgpr_dispatch_id 0
		.amdhsa_user_sgpr_kernarg_preload_length 0
		.amdhsa_user_sgpr_kernarg_preload_offset 0
		.amdhsa_user_sgpr_private_segment_size 0
		.amdhsa_wavefront_size32 1
		.amdhsa_uses_dynamic_stack 0
		.amdhsa_enable_private_segment 0
		.amdhsa_system_sgpr_workgroup_id_x 1
		.amdhsa_system_sgpr_workgroup_id_y 1
		.amdhsa_system_sgpr_workgroup_id_z 0
		.amdhsa_system_sgpr_workgroup_info 0
		.amdhsa_system_vgpr_workitem_id 1
		.amdhsa_next_free_vgpr 32
		.amdhsa_next_free_sgpr 30
		.amdhsa_named_barrier_count 0
		.amdhsa_reserve_vcc 1
		.amdhsa_float_round_mode_32 0
		.amdhsa_float_round_mode_16_64 0
		.amdhsa_float_denorm_mode_32 3
		.amdhsa_float_denorm_mode_16_64 3
		.amdhsa_fp16_overflow 0
		.amdhsa_memory_ordered 1
		.amdhsa_forward_progress 1
		.amdhsa_inst_pref_size 16
		.amdhsa_round_robin_scheduling 0
		.amdhsa_exception_fp_ieee_invalid_op 0
		.amdhsa_exception_fp_denorm_src 0
		.amdhsa_exception_fp_ieee_div_zero 0
		.amdhsa_exception_fp_ieee_overflow 0
		.amdhsa_exception_fp_ieee_underflow 0
		.amdhsa_exception_fp_ieee_inexact 0
		.amdhsa_exception_int_div_zero 0
	.end_amdhsa_kernel
	.section	.text._ZN9rocsparseL31bsrmm_large_blockdim_kernel_extILj4ELj16ELj2Eii21rocsparse_complex_numIfES2_S2_S2_EEvb20rocsparse_direction_T3_S4_llNS_24const_host_device_scalarIT7_EEPKT2_PKS4_PKT4_S4_PKT5_llS7_PT6_ll16rocsparse_order_21rocsparse_index_base_b,"axG",@progbits,_ZN9rocsparseL31bsrmm_large_blockdim_kernel_extILj4ELj16ELj2Eii21rocsparse_complex_numIfES2_S2_S2_EEvb20rocsparse_direction_T3_S4_llNS_24const_host_device_scalarIT7_EEPKT2_PKS4_PKT4_S4_PKT5_llS7_PT6_ll16rocsparse_order_21rocsparse_index_base_b,comdat
.Lfunc_end25:
	.size	_ZN9rocsparseL31bsrmm_large_blockdim_kernel_extILj4ELj16ELj2Eii21rocsparse_complex_numIfES2_S2_S2_EEvb20rocsparse_direction_T3_S4_llNS_24const_host_device_scalarIT7_EEPKT2_PKS4_PKT4_S4_PKT5_llS7_PT6_ll16rocsparse_order_21rocsparse_index_base_b, .Lfunc_end25-_ZN9rocsparseL31bsrmm_large_blockdim_kernel_extILj4ELj16ELj2Eii21rocsparse_complex_numIfES2_S2_S2_EEvb20rocsparse_direction_T3_S4_llNS_24const_host_device_scalarIT7_EEPKT2_PKS4_PKT4_S4_PKT5_llS7_PT6_ll16rocsparse_order_21rocsparse_index_base_b
                                        ; -- End function
	.set _ZN9rocsparseL31bsrmm_large_blockdim_kernel_extILj4ELj16ELj2Eii21rocsparse_complex_numIfES2_S2_S2_EEvb20rocsparse_direction_T3_S4_llNS_24const_host_device_scalarIT7_EEPKT2_PKS4_PKT4_S4_PKT5_llS7_PT6_ll16rocsparse_order_21rocsparse_index_base_b.num_vgpr, 32
	.set _ZN9rocsparseL31bsrmm_large_blockdim_kernel_extILj4ELj16ELj2Eii21rocsparse_complex_numIfES2_S2_S2_EEvb20rocsparse_direction_T3_S4_llNS_24const_host_device_scalarIT7_EEPKT2_PKS4_PKT4_S4_PKT5_llS7_PT6_ll16rocsparse_order_21rocsparse_index_base_b.num_agpr, 0
	.set _ZN9rocsparseL31bsrmm_large_blockdim_kernel_extILj4ELj16ELj2Eii21rocsparse_complex_numIfES2_S2_S2_EEvb20rocsparse_direction_T3_S4_llNS_24const_host_device_scalarIT7_EEPKT2_PKS4_PKT4_S4_PKT5_llS7_PT6_ll16rocsparse_order_21rocsparse_index_base_b.numbered_sgpr, 30
	.set _ZN9rocsparseL31bsrmm_large_blockdim_kernel_extILj4ELj16ELj2Eii21rocsparse_complex_numIfES2_S2_S2_EEvb20rocsparse_direction_T3_S4_llNS_24const_host_device_scalarIT7_EEPKT2_PKS4_PKT4_S4_PKT5_llS7_PT6_ll16rocsparse_order_21rocsparse_index_base_b.num_named_barrier, 0
	.set _ZN9rocsparseL31bsrmm_large_blockdim_kernel_extILj4ELj16ELj2Eii21rocsparse_complex_numIfES2_S2_S2_EEvb20rocsparse_direction_T3_S4_llNS_24const_host_device_scalarIT7_EEPKT2_PKS4_PKT4_S4_PKT5_llS7_PT6_ll16rocsparse_order_21rocsparse_index_base_b.private_seg_size, 0
	.set _ZN9rocsparseL31bsrmm_large_blockdim_kernel_extILj4ELj16ELj2Eii21rocsparse_complex_numIfES2_S2_S2_EEvb20rocsparse_direction_T3_S4_llNS_24const_host_device_scalarIT7_EEPKT2_PKS4_PKT4_S4_PKT5_llS7_PT6_ll16rocsparse_order_21rocsparse_index_base_b.uses_vcc, 1
	.set _ZN9rocsparseL31bsrmm_large_blockdim_kernel_extILj4ELj16ELj2Eii21rocsparse_complex_numIfES2_S2_S2_EEvb20rocsparse_direction_T3_S4_llNS_24const_host_device_scalarIT7_EEPKT2_PKS4_PKT4_S4_PKT5_llS7_PT6_ll16rocsparse_order_21rocsparse_index_base_b.uses_flat_scratch, 1
	.set _ZN9rocsparseL31bsrmm_large_blockdim_kernel_extILj4ELj16ELj2Eii21rocsparse_complex_numIfES2_S2_S2_EEvb20rocsparse_direction_T3_S4_llNS_24const_host_device_scalarIT7_EEPKT2_PKS4_PKT4_S4_PKT5_llS7_PT6_ll16rocsparse_order_21rocsparse_index_base_b.has_dyn_sized_stack, 0
	.set _ZN9rocsparseL31bsrmm_large_blockdim_kernel_extILj4ELj16ELj2Eii21rocsparse_complex_numIfES2_S2_S2_EEvb20rocsparse_direction_T3_S4_llNS_24const_host_device_scalarIT7_EEPKT2_PKS4_PKT4_S4_PKT5_llS7_PT6_ll16rocsparse_order_21rocsparse_index_base_b.has_recursion, 0
	.set _ZN9rocsparseL31bsrmm_large_blockdim_kernel_extILj4ELj16ELj2Eii21rocsparse_complex_numIfES2_S2_S2_EEvb20rocsparse_direction_T3_S4_llNS_24const_host_device_scalarIT7_EEPKT2_PKS4_PKT4_S4_PKT5_llS7_PT6_ll16rocsparse_order_21rocsparse_index_base_b.has_indirect_call, 0
	.section	.AMDGPU.csdata,"",@progbits
; Kernel info:
; codeLenInByte = 1984
; TotalNumSgprs: 32
; NumVgprs: 32
; ScratchSize: 0
; MemoryBound: 0
; FloatMode: 240
; IeeeMode: 1
; LDSByteSize: 1152 bytes/workgroup (compile time only)
; SGPRBlocks: 0
; VGPRBlocks: 1
; NumSGPRsForWavesPerEU: 32
; NumVGPRsForWavesPerEU: 32
; NamedBarCnt: 0
; Occupancy: 16
; WaveLimiterHint : 1
; COMPUTE_PGM_RSRC2:SCRATCH_EN: 0
; COMPUTE_PGM_RSRC2:USER_SGPR: 2
; COMPUTE_PGM_RSRC2:TRAP_HANDLER: 0
; COMPUTE_PGM_RSRC2:TGID_X_EN: 1
; COMPUTE_PGM_RSRC2:TGID_Y_EN: 1
; COMPUTE_PGM_RSRC2:TGID_Z_EN: 0
; COMPUTE_PGM_RSRC2:TIDIG_COMP_CNT: 1
	.section	.text._ZN9rocsparseL31bsrmm_large_blockdim_kernel_extILj16ELj16ELj2Eii21rocsparse_complex_numIfES2_S2_S2_EEvb20rocsparse_direction_T3_S4_llNS_24const_host_device_scalarIT7_EEPKT2_PKS4_PKT4_S4_PKT5_llS7_PT6_ll16rocsparse_order_21rocsparse_index_base_b,"axG",@progbits,_ZN9rocsparseL31bsrmm_large_blockdim_kernel_extILj16ELj16ELj2Eii21rocsparse_complex_numIfES2_S2_S2_EEvb20rocsparse_direction_T3_S4_llNS_24const_host_device_scalarIT7_EEPKT2_PKS4_PKT4_S4_PKT5_llS7_PT6_ll16rocsparse_order_21rocsparse_index_base_b,comdat
	.globl	_ZN9rocsparseL31bsrmm_large_blockdim_kernel_extILj16ELj16ELj2Eii21rocsparse_complex_numIfES2_S2_S2_EEvb20rocsparse_direction_T3_S4_llNS_24const_host_device_scalarIT7_EEPKT2_PKS4_PKT4_S4_PKT5_llS7_PT6_ll16rocsparse_order_21rocsparse_index_base_b ; -- Begin function _ZN9rocsparseL31bsrmm_large_blockdim_kernel_extILj16ELj16ELj2Eii21rocsparse_complex_numIfES2_S2_S2_EEvb20rocsparse_direction_T3_S4_llNS_24const_host_device_scalarIT7_EEPKT2_PKS4_PKT4_S4_PKT5_llS7_PT6_ll16rocsparse_order_21rocsparse_index_base_b
	.p2align	8
	.type	_ZN9rocsparseL31bsrmm_large_blockdim_kernel_extILj16ELj16ELj2Eii21rocsparse_complex_numIfES2_S2_S2_EEvb20rocsparse_direction_T3_S4_llNS_24const_host_device_scalarIT7_EEPKT2_PKS4_PKT4_S4_PKT5_llS7_PT6_ll16rocsparse_order_21rocsparse_index_base_b,@function
_ZN9rocsparseL31bsrmm_large_blockdim_kernel_extILj16ELj16ELj2Eii21rocsparse_complex_numIfES2_S2_S2_EEvb20rocsparse_direction_T3_S4_llNS_24const_host_device_scalarIT7_EEPKT2_PKS4_PKT4_S4_PKT5_llS7_PT6_ll16rocsparse_order_21rocsparse_index_base_b: ; @_ZN9rocsparseL31bsrmm_large_blockdim_kernel_extILj16ELj16ELj2Eii21rocsparse_complex_numIfES2_S2_S2_EEvb20rocsparse_direction_T3_S4_llNS_24const_host_device_scalarIT7_EEPKT2_PKS4_PKT4_S4_PKT5_llS7_PT6_ll16rocsparse_order_21rocsparse_index_base_b
; %bb.0:
	s_clause 0x2
	s_load_b96 s[20:22], s[0:1], 0x80
	s_load_b64 s[2:3], s[0:1], 0x20
	s_load_b64 s[4:5], s[0:1], 0x60
	v_mov_b32_e32 v1, 0
	s_add_nc_u64 s[6:7], s[0:1], 32
	s_add_nc_u64 s[8:9], s[0:1], 0x60
	s_mov_b32 s24, 0
	s_wait_kmcnt 0x0
	s_bitcmp1_b32 s22, 0
	s_cselect_b32 s3, s7, s3
	s_cselect_b32 s2, s6, s2
	;; [unrolled: 1-line block ×4, first 2 shown]
	s_clause 0x1
	flat_load_b64 v[2:3], v1, s[2:3]
	flat_load_b64 v[4:5], v1, s[4:5]
	s_wait_loadcnt_dscnt 0x101
	v_cmp_eq_f32_e32 vcc_lo, 0, v2
	v_cmp_eq_f32_e64 s3, 0, v3
	s_wait_loadcnt_dscnt 0x0
	v_cmp_eq_f32_e64 s4, 1.0, v4
	v_cmp_eq_f32_e64 s2, 0, v5
	s_and_b32 s3, vcc_lo, s3
	s_and_b32 s4, s4, s2
	s_delay_alu instid0(SALU_CYCLE_1) | instskip(NEXT) | instid1(SALU_CYCLE_1)
	s_and_b32 s3, s3, s4
	s_xor_b32 s3, s3, -1
	s_delay_alu instid0(SALU_CYCLE_1)
	s_and_saveexec_b32 s4, s3
	s_cbranch_execz .LBB26_47
; %bb.1:
	s_clause 0x1
	s_load_b128 s[8:11], s[0:1], 0x0
	s_load_b64 s[4:5], s[0:1], 0x28
	s_bfe_u32 s3, ttmp6, 0x4000c
	s_and_b32 s6, ttmp6, 15
	s_add_co_i32 s3, s3, 1
	s_delay_alu instid0(SALU_CYCLE_1)
	s_mul_i32 s7, ttmp9, s3
	s_getreg_b32 s3, hwreg(HW_REG_IB_STS2, 6, 4)
	s_add_co_i32 s6, s6, s7
	s_cmp_eq_u32 s3, 0
	s_cselect_b32 s22, ttmp9, s6
	s_wait_kmcnt 0x0
	s_cmp_lt_i32 s22, s10
	s_cselect_b32 s7, -1, 0
	s_cmp_ge_i32 s22, s10
	s_cbranch_scc1 .LBB26_3
; %bb.2:
	s_ashr_i32 s23, s22, 31
	s_delay_alu instid0(SALU_CYCLE_1) | instskip(NEXT) | instid1(SALU_CYCLE_1)
	s_lshl_b64 s[12:13], s[22:23], 2
	s_add_nc_u64 s[12:13], s[4:5], s[12:13]
	s_load_b32 s6, s[12:13], 0x0
	s_wait_kmcnt 0x0
	s_sub_co_i32 s24, s6, s21
.LBB26_3:
	s_and_not1_b32 vcc_lo, exec_lo, s7
	s_mov_b32 s23, 0
	s_cbranch_vccnz .LBB26_5
; %bb.4:
	s_ashr_i32 s23, s22, 31
	s_delay_alu instid0(SALU_CYCLE_1) | instskip(NEXT) | instid1(SALU_CYCLE_1)
	s_lshl_b64 s[12:13], s[22:23], 2
	s_add_nc_u64 s[4:5], s[4:5], s[12:13]
	s_load_b32 s4, s[4:5], 0x4
	s_wait_kmcnt 0x0
	s_sub_co_i32 s23, s4, s21
.LBB26_5:
	s_bfe_u32 s4, ttmp6, 0x40010
	s_bfe_u32 s5, ttmp6, 0x40004
	s_add_co_i32 s4, s4, 1
	s_load_b32 s10, s[0:1], 0x40
	s_mul_i32 s4, ttmp7, s4
	v_bfe_u32 v6, v0, 10, 10
	s_add_co_i32 s5, s5, s4
	s_cmp_eq_u32 s3, 0
	v_and_b32_e32 v20, 0x3ff, v0
	s_cselect_b32 s3, ttmp7, s5
	s_cmp_ge_i32 s24, s23
	v_lshl_add_u32 v8, s3, 5, v6
	s_delay_alu instid0(VALU_DEP_1) | instskip(SKIP_1) | instid1(VALU_DEP_2)
	v_add_nc_u32_e32 v0, 16, v8
	v_cmp_gt_i32_e64 s3, s11, v8
	v_cmp_gt_i32_e64 s4, s11, v0
	s_wait_kmcnt 0x0
	v_cmp_gt_i32_e32 vcc_lo, s10, v20
	s_cbranch_scc1 .LBB26_23
; %bb.6:
	s_clause 0x1
	s_load_b128 s[12:15], s[0:1], 0x48
	s_load_b128 s[16:19], s[0:1], 0x30
	v_cmp_gt_i32_e64 s5, s10, v6
	v_mad_u32 v7, s10, v6, v20
	v_mad_u32 v10, s10, v20, v6
	v_dual_ashrrev_i32 v9, 31, v8 :: v_dual_lshlrev_b32 v21, 7, v6
	s_and_b32 s26, vcc_lo, s5
	s_bitcmp1_b32 s8, 0
	v_lshl_add_u32 v16, v6, 3, 0x1000
	s_cselect_b32 s5, -1, 0
	s_cmp_eq_u32 s9, 0
	v_dual_lshlrev_b32 v17, 7, v20 :: v_dual_lshlrev_b32 v18, 3, v20
	s_cselect_b32 s6, -1, 0
	s_delay_alu instid0(VALU_DEP_4) | instid1(SALU_CYCLE_1)
	v_dual_ashrrev_i32 v1, 31, v0 :: v_dual_cndmask_b32 v22, v7, v10, s6
	v_mov_b64_e32 v[10:11], 0
	v_mov_b64_e32 v[6:7], 0
	v_add_nc_u32_e32 v23, 0x1000, v17
	s_wait_kmcnt 0x0
	v_mul_u64_e32 v[12:13], s[14:15], v[8:9]
	v_mul_u64_e32 v[14:15], s[14:15], v[0:1]
	v_add_nc_u32_e32 v24, 0x800, v21
	v_add_nc_u32_e32 v25, v18, v21
	;; [unrolled: 1-line block ×3, first 2 shown]
	s_mul_i32 s6, s10, s10
	s_branch .LBB26_9
.LBB26_7:                               ;   in Loop: Header=BB26_9 Depth=1
	s_or_b32 exec_lo, exec_lo, s9
.LBB26_8:                               ;   in Loop: Header=BB26_9 Depth=1
	s_delay_alu instid0(SALU_CYCLE_1) | instskip(SKIP_1) | instid1(SALU_CYCLE_1)
	s_or_b32 exec_lo, exec_lo, s8
	s_add_co_i32 s24, s24, 1
	s_cmp_ge_i32 s24, s23
	s_barrier_signal -1
	s_barrier_wait -1
	s_cbranch_scc1 .LBB26_24
.LBB26_9:                               ; =>This Loop Header: Depth=1
                                        ;     Child Loop BB26_19 Depth 2
                                        ;     Child Loop BB26_22 Depth 2
	s_and_saveexec_b32 s8, vcc_lo
	s_cbranch_execz .LBB26_14
; %bb.10:                               ;   in Loop: Header=BB26_9 Depth=1
	s_ashr_i32 s25, s24, 31
	s_delay_alu instid0(SALU_CYCLE_1) | instskip(NEXT) | instid1(SALU_CYCLE_1)
	s_lshl_b64 s[28:29], s[24:25], 2
	s_add_nc_u64 s[28:29], s[16:17], s[28:29]
	s_load_b32 s9, s[28:29], 0x0
	s_wait_kmcnt 0x0
	s_sub_co_i32 s9, s9, s21
	s_delay_alu instid0(SALU_CYCLE_1) | instskip(NEXT) | instid1(VALU_DEP_1)
	v_mad_u32 v18, s9, s10, v20
	v_ashrrev_i32_e32 v19, 31, v18
	s_delay_alu instid0(VALU_DEP_1) | instskip(SKIP_1) | instid1(VALU_DEP_2)
	v_mul_u64_e32 v[16:17], s[14:15], v[18:19]
	v_lshl_add_u64 v[18:19], v[18:19], 3, s[12:13]
	v_lshl_add_u64 v[16:17], v[16:17], 3, s[12:13]
	s_and_saveexec_b32 s9, s3
	s_cbranch_execz .LBB26_12
; %bb.11:                               ;   in Loop: Header=BB26_9 Depth=1
	s_delay_alu instid0(VALU_DEP_1) | instskip(SKIP_1) | instid1(VALU_DEP_1)
	v_lshl_add_u64 v[28:29], v[8:9], 3, v[16:17]
	v_lshl_add_u64 v[30:31], v[12:13], 3, v[18:19]
	v_dual_cndmask_b32 v29, v29, v31, s5 :: v_dual_cndmask_b32 v28, v28, v30, s5
	global_load_b64 v[28:29], v[28:29], off
	s_wait_loadcnt 0x0
	ds_store_b64 v25, v[28:29]
.LBB26_12:                              ;   in Loop: Header=BB26_9 Depth=1
	s_or_b32 exec_lo, exec_lo, s9
	s_delay_alu instid0(SALU_CYCLE_1)
	s_and_b32 exec_lo, exec_lo, s4
	s_cbranch_execz .LBB26_14
; %bb.13:                               ;   in Loop: Header=BB26_9 Depth=1
	v_lshl_add_u64 v[18:19], v[14:15], 3, v[18:19]
	v_lshl_add_u64 v[16:17], v[0:1], 3, v[16:17]
	s_delay_alu instid0(VALU_DEP_1)
	v_dual_cndmask_b32 v17, v17, v19, s5 :: v_dual_cndmask_b32 v16, v16, v18, s5
	global_load_b64 v[16:17], v[16:17], off
	s_wait_loadcnt 0x0
	ds_store_b64 v25, v[16:17] offset:2048
.LBB26_14:                              ;   in Loop: Header=BB26_9 Depth=1
	s_or_b32 exec_lo, exec_lo, s8
	s_and_saveexec_b32 s8, s26
	s_cbranch_execz .LBB26_16
; %bb.15:                               ;   in Loop: Header=BB26_9 Depth=1
	v_mad_u32 v16, s6, s24, v22
	global_load_b64 v[16:17], v16, s[18:19] scale_offset
	s_wait_loadcnt 0x0
	ds_store_b64 v26, v[16:17]
.LBB26_16:                              ;   in Loop: Header=BB26_9 Depth=1
	s_or_b32 exec_lo, exec_lo, s8
	s_wait_dscnt 0x0
	s_barrier_signal -1
	s_barrier_wait -1
	s_and_saveexec_b32 s8, vcc_lo
	s_cbranch_execz .LBB26_8
; %bb.17:                               ;   in Loop: Header=BB26_9 Depth=1
	s_and_saveexec_b32 s9, s3
	s_cbranch_execz .LBB26_20
; %bb.18:                               ;   in Loop: Header=BB26_9 Depth=1
	v_dual_mov_b32 v16, v23 :: v_dual_mov_b32 v17, v21
	s_mov_b32 s25, s10
.LBB26_19:                              ;   Parent Loop BB26_9 Depth=1
                                        ; =>  This Inner Loop Header: Depth=2
	ds_load_b64 v[18:19], v17
	ds_load_b64 v[28:29], v16
	v_dual_add_nc_u32 v17, 8, v17 :: v_dual_add_nc_u32 v16, 8, v16
	s_add_co_i32 s25, s25, -1
	s_delay_alu instid0(SALU_CYCLE_1) | instskip(SKIP_2) | instid1(VALU_DEP_1)
	s_cmp_lg_u32 s25, 0
	s_wait_dscnt 0x0
	v_pk_fma_f32 v[10:11], v[28:29], v[18:19], v[10:11] op_sel_hi:[1,0,1]
	v_pk_fma_f32 v[10:11], v[28:29], v[18:19], v[10:11] op_sel:[1,1,0] op_sel_hi:[0,1,1] neg_lo:[1,0,0]
	s_cbranch_scc1 .LBB26_19
.LBB26_20:                              ;   in Loop: Header=BB26_9 Depth=1
	s_or_b32 exec_lo, exec_lo, s9
	s_and_saveexec_b32 s9, s4
	s_cbranch_execz .LBB26_7
; %bb.21:                               ;   in Loop: Header=BB26_9 Depth=1
	v_dual_mov_b32 v16, v23 :: v_dual_mov_b32 v17, v24
	s_mov_b32 s25, s10
.LBB26_22:                              ;   Parent Loop BB26_9 Depth=1
                                        ; =>  This Inner Loop Header: Depth=2
	ds_load_b64 v[18:19], v17
	ds_load_b64 v[28:29], v16
	v_dual_add_nc_u32 v17, 8, v17 :: v_dual_add_nc_u32 v16, 8, v16
	s_add_co_i32 s25, s25, -1
	s_delay_alu instid0(SALU_CYCLE_1) | instskip(SKIP_2) | instid1(VALU_DEP_1)
	s_cmp_lg_u32 s25, 0
	s_wait_dscnt 0x0
	v_pk_fma_f32 v[6:7], v[28:29], v[18:19], v[6:7] op_sel_hi:[1,0,1]
	v_pk_fma_f32 v[6:7], v[28:29], v[18:19], v[6:7] op_sel:[1,1,0] op_sel_hi:[0,1,1] neg_lo:[1,0,0]
	s_cbranch_scc1 .LBB26_22
	s_branch .LBB26_7
.LBB26_23:
	v_mov_b64_e32 v[6:7], 0
	v_mov_b64_e32 v[10:11], 0
.LBB26_24:
	s_load_b64 s[4:5], s[0:1], 0x68
	s_and_b32 s3, s7, vcc_lo
	s_delay_alu instid0(SALU_CYCLE_1)
	s_and_b32 exec_lo, exec_lo, s3
	s_cbranch_execz .LBB26_47
; %bb.25:
	s_wait_xcnt 0x0
	s_load_b64 s[0:1], s[0:1], 0x70
	v_mad_u32 v12, s10, s22, v20
	v_cmp_neq_f32_e32 vcc_lo, 0, v4
	s_xor_b32 s2, s2, -1
	s_delay_alu instid0(SALU_CYCLE_1) | instskip(SKIP_2) | instid1(VALU_DEP_2)
	s_or_b32 s2, vcc_lo, s2
	s_cmp_lg_u32 s20, 1
	s_cselect_b32 s3, -1, 0
	v_ashrrev_i32_e32 v13, 31, v12
	s_wait_kmcnt 0x0
	s_delay_alu instid0(VALU_DEP_1) | instskip(SKIP_1) | instid1(VALU_DEP_2)
	v_mul_u64_e32 v[14:15], s[0:1], v[12:13]
	v_lshl_add_u64 v[12:13], v[12:13], 3, s[4:5]
	v_lshl_add_u64 v[14:15], v[14:15], 3, s[4:5]
	s_mov_b32 s4, exec_lo
	v_cmpx_gt_i32_e64 s11, v8
	s_cbranch_execz .LBB26_36
; %bb.26:
	v_ashrrev_i32_e32 v9, 31, v8
	s_and_saveexec_b32 s5, s2
	s_delay_alu instid0(SALU_CYCLE_1)
	s_xor_b32 s5, exec_lo, s5
	s_cbranch_execz .LBB26_31
; %bb.27:
	s_and_b32 vcc_lo, exec_lo, s3
	s_mov_b32 s6, -1
	s_cbranch_vccz .LBB26_29
; %bb.28:
	v_lshl_add_u64 v[16:17], v[8:9], 3, v[14:15]
	v_xor_b32_e32 v20, 0x80000000, v3
	v_dual_mov_b32 v21, v2 :: v_dual_mov_b32 v23, v4
	v_xor_b32_e32 v22, 0x80000000, v5
	global_load_b64 v[18:19], v[16:17], off
	s_mov_b32 s6, 0
	v_pk_mul_f32 v[20:21], v[10:11], v[20:21] op_sel:[1,0]
	s_delay_alu instid0(VALU_DEP_1) | instskip(SKIP_1) | instid1(VALU_DEP_1)
	v_pk_fma_f32 v[20:21], v[2:3], v[10:11], v[20:21] op_sel_hi:[1,0,1]
	s_wait_loadcnt 0x0
	v_pk_fma_f32 v[20:21], v[4:5], v[18:19], v[20:21] op_sel_hi:[1,0,1]
	s_delay_alu instid0(VALU_DEP_1)
	v_pk_fma_f32 v[18:19], v[22:23], v[18:19], v[20:21] op_sel:[0,1,0]
	global_store_b64 v[16:17], v[18:19], off
.LBB26_29:
	s_and_not1_b32 vcc_lo, exec_lo, s6
	s_cbranch_vccnz .LBB26_31
; %bb.30:
	v_mul_u64_e32 v[8:9], s[0:1], v[8:9]
	s_wait_xcnt 0x0
	v_xor_b32_e32 v18, 0x80000000, v3
	v_mov_b32_e32 v19, v2
	s_delay_alu instid0(VALU_DEP_1) | instskip(NEXT) | instid1(VALU_DEP_1)
	v_pk_mul_f32 v[18:19], v[10:11], v[18:19] op_sel:[1,0]
	v_pk_fma_f32 v[10:11], v[2:3], v[10:11], v[18:19] op_sel_hi:[1,0,1]
	v_xor_b32_e32 v18, 0x80000000, v5
	v_mov_b32_e32 v19, v4
	v_lshl_add_u64 v[8:9], v[8:9], 3, v[12:13]
	global_load_b64 v[16:17], v[8:9], off
	s_wait_loadcnt 0x0
	v_pk_fma_f32 v[10:11], v[4:5], v[16:17], v[10:11] op_sel_hi:[1,0,1]
	s_delay_alu instid0(VALU_DEP_1)
	v_pk_fma_f32 v[10:11], v[18:19], v[16:17], v[10:11] op_sel:[0,1,0]
	global_store_b64 v[8:9], v[10:11], off
                                        ; implicit-def: $vgpr10_vgpr11
                                        ; implicit-def: $vgpr8
.LBB26_31:
	s_wait_xcnt 0x0
	s_and_not1_saveexec_b32 s5, s5
	s_cbranch_execz .LBB26_36
; %bb.32:
	v_xor_b32_e32 v16, 0x80000000, v3
	v_mov_b32_e32 v17, v2
	s_and_b32 vcc_lo, exec_lo, s3
	s_mov_b32 s5, -1
	s_delay_alu instid0(VALU_DEP_1) | instskip(NEXT) | instid1(VALU_DEP_1)
	v_pk_mul_f32 v[16:17], v[10:11], v[16:17] op_sel:[1,0]
	v_pk_fma_f32 v[10:11], v[2:3], v[10:11], v[16:17] op_sel_hi:[1,0,1]
	s_cbranch_vccz .LBB26_34
; %bb.33:
	v_lshl_add_u64 v[16:17], v[8:9], 3, v[14:15]
	s_mov_b32 s5, 0
	global_store_b64 v[16:17], v[10:11], off
.LBB26_34:
	s_and_not1_b32 vcc_lo, exec_lo, s5
	s_cbranch_vccnz .LBB26_36
; %bb.35:
	v_mul_u64_e32 v[8:9], s[0:1], v[8:9]
	s_delay_alu instid0(VALU_DEP_1)
	v_lshl_add_u64 v[8:9], v[8:9], 3, v[12:13]
	global_store_b64 v[8:9], v[10:11], off
.LBB26_36:
	s_wait_xcnt 0x0
	s_or_b32 exec_lo, exec_lo, s4
	v_cmp_gt_i32_e32 vcc_lo, s11, v0
	s_and_b32 exec_lo, exec_lo, vcc_lo
	s_cbranch_execz .LBB26_47
; %bb.37:
	v_ashrrev_i32_e32 v1, 31, v0
	v_cndmask_b32_e64 v9, 0, 1, s3
	s_and_saveexec_b32 s3, s2
	s_delay_alu instid0(SALU_CYCLE_1)
	s_xor_b32 s2, exec_lo, s3
	s_cbranch_execz .LBB26_42
; %bb.38:
	s_delay_alu instid0(VALU_DEP_1)
	v_cmp_ne_u32_e32 vcc_lo, 1, v9
	v_xor_b32_e32 v8, 0x80000000, v5
	s_mov_b32 s3, -1
	s_cbranch_vccnz .LBB26_40
; %bb.39:
	v_lshl_add_u64 v[10:11], v[0:1], 3, v[14:15]
	v_xor_b32_e32 v16, 0x80000000, v3
	v_dual_mov_b32 v17, v2 :: v_dual_mov_b32 v9, v4
	s_mov_b32 s3, 0
	global_load_b64 v[14:15], v[10:11], off
	v_pk_mul_f32 v[16:17], v[6:7], v[16:17] op_sel:[1,0]
	s_delay_alu instid0(VALU_DEP_1) | instskip(SKIP_1) | instid1(VALU_DEP_1)
	v_pk_fma_f32 v[16:17], v[2:3], v[6:7], v[16:17] op_sel_hi:[1,0,1]
	s_wait_loadcnt 0x0
	v_pk_fma_f32 v[16:17], v[4:5], v[14:15], v[16:17] op_sel_hi:[1,0,1]
	s_delay_alu instid0(VALU_DEP_1)
	v_pk_fma_f32 v[14:15], v[8:9], v[14:15], v[16:17] op_sel:[0,1,0]
	global_store_b64 v[10:11], v[14:15], off
.LBB26_40:
	s_and_not1_b32 vcc_lo, exec_lo, s3
                                        ; implicit-def: $vgpr9
                                        ; implicit-def: $vgpr14_vgpr15
	s_cbranch_vccnz .LBB26_42
; %bb.41:
	v_mul_u64_e32 v[0:1], s[0:1], v[0:1]
                                        ; implicit-def: $vgpr14_vgpr15
	v_mov_b32_e32 v9, v4
	s_delay_alu instid0(VALU_DEP_2) | instskip(SKIP_4) | instid1(VALU_DEP_1)
	v_lshl_add_u64 v[0:1], v[0:1], 3, v[12:13]
	v_xor_b32_e32 v12, 0x80000000, v3
	v_mov_b32_e32 v13, v2
	global_load_b64 v[10:11], v[0:1], off
	v_pk_mul_f32 v[12:13], v[6:7], v[12:13] op_sel:[1,0]
	v_pk_fma_f32 v[2:3], v[2:3], v[6:7], v[12:13] op_sel_hi:[1,0,1]
                                        ; implicit-def: $vgpr12_vgpr13
                                        ; implicit-def: $vgpr6_vgpr7
	s_wait_loadcnt 0x0
	s_delay_alu instid0(VALU_DEP_1) | instskip(NEXT) | instid1(VALU_DEP_1)
	v_pk_fma_f32 v[2:3], v[4:5], v[10:11], v[2:3] op_sel_hi:[1,0,1]
	v_pk_fma_f32 v[2:3], v[8:9], v[10:11], v[2:3] op_sel:[0,1,0]
                                        ; implicit-def: $vgpr9
	global_store_b64 v[0:1], v[2:3], off
                                        ; implicit-def: $vgpr2_vgpr3
                                        ; implicit-def: $vgpr0
.LBB26_42:
	s_wait_xcnt 0x0
	s_and_not1_saveexec_b32 s2, s2
	s_cbranch_execz .LBB26_47
; %bb.43:
	v_xor_b32_e32 v4, 0x80000000, v3
	v_mov_b32_e32 v5, v2
	v_cmp_ne_u32_e32 vcc_lo, 1, v9
	s_mov_b32 s2, -1
	s_delay_alu instid0(VALU_DEP_2) | instskip(NEXT) | instid1(VALU_DEP_1)
	v_pk_mul_f32 v[4:5], v[6:7], v[4:5] op_sel:[1,0]
	v_pk_fma_f32 v[2:3], v[2:3], v[6:7], v[4:5] op_sel_hi:[1,0,1]
	s_cbranch_vccnz .LBB26_45
; %bb.44:
	v_lshl_add_u64 v[4:5], v[0:1], 3, v[14:15]
	s_mov_b32 s2, 0
	global_store_b64 v[4:5], v[2:3], off
.LBB26_45:
	s_and_not1_b32 vcc_lo, exec_lo, s2
	s_cbranch_vccnz .LBB26_47
; %bb.46:
	v_mul_u64_e32 v[0:1], s[0:1], v[0:1]
	s_delay_alu instid0(VALU_DEP_1)
	v_lshl_add_u64 v[0:1], v[0:1], 3, v[12:13]
	global_store_b64 v[0:1], v[2:3], off
.LBB26_47:
	s_endpgm
	.section	.rodata,"a",@progbits
	.p2align	6, 0x0
	.amdhsa_kernel _ZN9rocsparseL31bsrmm_large_blockdim_kernel_extILj16ELj16ELj2Eii21rocsparse_complex_numIfES2_S2_S2_EEvb20rocsparse_direction_T3_S4_llNS_24const_host_device_scalarIT7_EEPKT2_PKS4_PKT4_S4_PKT5_llS7_PT6_ll16rocsparse_order_21rocsparse_index_base_b
		.amdhsa_group_segment_fixed_size 6144
		.amdhsa_private_segment_fixed_size 0
		.amdhsa_kernarg_size 140
		.amdhsa_user_sgpr_count 2
		.amdhsa_user_sgpr_dispatch_ptr 0
		.amdhsa_user_sgpr_queue_ptr 0
		.amdhsa_user_sgpr_kernarg_segment_ptr 1
		.amdhsa_user_sgpr_dispatch_id 0
		.amdhsa_user_sgpr_kernarg_preload_length 0
		.amdhsa_user_sgpr_kernarg_preload_offset 0
		.amdhsa_user_sgpr_private_segment_size 0
		.amdhsa_wavefront_size32 1
		.amdhsa_uses_dynamic_stack 0
		.amdhsa_enable_private_segment 0
		.amdhsa_system_sgpr_workgroup_id_x 1
		.amdhsa_system_sgpr_workgroup_id_y 1
		.amdhsa_system_sgpr_workgroup_id_z 0
		.amdhsa_system_sgpr_workgroup_info 0
		.amdhsa_system_vgpr_workitem_id 1
		.amdhsa_next_free_vgpr 32
		.amdhsa_next_free_sgpr 30
		.amdhsa_named_barrier_count 0
		.amdhsa_reserve_vcc 1
		.amdhsa_float_round_mode_32 0
		.amdhsa_float_round_mode_16_64 0
		.amdhsa_float_denorm_mode_32 3
		.amdhsa_float_denorm_mode_16_64 3
		.amdhsa_fp16_overflow 0
		.amdhsa_memory_ordered 1
		.amdhsa_forward_progress 1
		.amdhsa_inst_pref_size 16
		.amdhsa_round_robin_scheduling 0
		.amdhsa_exception_fp_ieee_invalid_op 0
		.amdhsa_exception_fp_denorm_src 0
		.amdhsa_exception_fp_ieee_div_zero 0
		.amdhsa_exception_fp_ieee_overflow 0
		.amdhsa_exception_fp_ieee_underflow 0
		.amdhsa_exception_fp_ieee_inexact 0
		.amdhsa_exception_int_div_zero 0
	.end_amdhsa_kernel
	.section	.text._ZN9rocsparseL31bsrmm_large_blockdim_kernel_extILj16ELj16ELj2Eii21rocsparse_complex_numIfES2_S2_S2_EEvb20rocsparse_direction_T3_S4_llNS_24const_host_device_scalarIT7_EEPKT2_PKS4_PKT4_S4_PKT5_llS7_PT6_ll16rocsparse_order_21rocsparse_index_base_b,"axG",@progbits,_ZN9rocsparseL31bsrmm_large_blockdim_kernel_extILj16ELj16ELj2Eii21rocsparse_complex_numIfES2_S2_S2_EEvb20rocsparse_direction_T3_S4_llNS_24const_host_device_scalarIT7_EEPKT2_PKS4_PKT4_S4_PKT5_llS7_PT6_ll16rocsparse_order_21rocsparse_index_base_b,comdat
.Lfunc_end26:
	.size	_ZN9rocsparseL31bsrmm_large_blockdim_kernel_extILj16ELj16ELj2Eii21rocsparse_complex_numIfES2_S2_S2_EEvb20rocsparse_direction_T3_S4_llNS_24const_host_device_scalarIT7_EEPKT2_PKS4_PKT4_S4_PKT5_llS7_PT6_ll16rocsparse_order_21rocsparse_index_base_b, .Lfunc_end26-_ZN9rocsparseL31bsrmm_large_blockdim_kernel_extILj16ELj16ELj2Eii21rocsparse_complex_numIfES2_S2_S2_EEvb20rocsparse_direction_T3_S4_llNS_24const_host_device_scalarIT7_EEPKT2_PKS4_PKT4_S4_PKT5_llS7_PT6_ll16rocsparse_order_21rocsparse_index_base_b
                                        ; -- End function
	.set _ZN9rocsparseL31bsrmm_large_blockdim_kernel_extILj16ELj16ELj2Eii21rocsparse_complex_numIfES2_S2_S2_EEvb20rocsparse_direction_T3_S4_llNS_24const_host_device_scalarIT7_EEPKT2_PKS4_PKT4_S4_PKT5_llS7_PT6_ll16rocsparse_order_21rocsparse_index_base_b.num_vgpr, 32
	.set _ZN9rocsparseL31bsrmm_large_blockdim_kernel_extILj16ELj16ELj2Eii21rocsparse_complex_numIfES2_S2_S2_EEvb20rocsparse_direction_T3_S4_llNS_24const_host_device_scalarIT7_EEPKT2_PKS4_PKT4_S4_PKT5_llS7_PT6_ll16rocsparse_order_21rocsparse_index_base_b.num_agpr, 0
	.set _ZN9rocsparseL31bsrmm_large_blockdim_kernel_extILj16ELj16ELj2Eii21rocsparse_complex_numIfES2_S2_S2_EEvb20rocsparse_direction_T3_S4_llNS_24const_host_device_scalarIT7_EEPKT2_PKS4_PKT4_S4_PKT5_llS7_PT6_ll16rocsparse_order_21rocsparse_index_base_b.numbered_sgpr, 30
	.set _ZN9rocsparseL31bsrmm_large_blockdim_kernel_extILj16ELj16ELj2Eii21rocsparse_complex_numIfES2_S2_S2_EEvb20rocsparse_direction_T3_S4_llNS_24const_host_device_scalarIT7_EEPKT2_PKS4_PKT4_S4_PKT5_llS7_PT6_ll16rocsparse_order_21rocsparse_index_base_b.num_named_barrier, 0
	.set _ZN9rocsparseL31bsrmm_large_blockdim_kernel_extILj16ELj16ELj2Eii21rocsparse_complex_numIfES2_S2_S2_EEvb20rocsparse_direction_T3_S4_llNS_24const_host_device_scalarIT7_EEPKT2_PKS4_PKT4_S4_PKT5_llS7_PT6_ll16rocsparse_order_21rocsparse_index_base_b.private_seg_size, 0
	.set _ZN9rocsparseL31bsrmm_large_blockdim_kernel_extILj16ELj16ELj2Eii21rocsparse_complex_numIfES2_S2_S2_EEvb20rocsparse_direction_T3_S4_llNS_24const_host_device_scalarIT7_EEPKT2_PKS4_PKT4_S4_PKT5_llS7_PT6_ll16rocsparse_order_21rocsparse_index_base_b.uses_vcc, 1
	.set _ZN9rocsparseL31bsrmm_large_blockdim_kernel_extILj16ELj16ELj2Eii21rocsparse_complex_numIfES2_S2_S2_EEvb20rocsparse_direction_T3_S4_llNS_24const_host_device_scalarIT7_EEPKT2_PKS4_PKT4_S4_PKT5_llS7_PT6_ll16rocsparse_order_21rocsparse_index_base_b.uses_flat_scratch, 1
	.set _ZN9rocsparseL31bsrmm_large_blockdim_kernel_extILj16ELj16ELj2Eii21rocsparse_complex_numIfES2_S2_S2_EEvb20rocsparse_direction_T3_S4_llNS_24const_host_device_scalarIT7_EEPKT2_PKS4_PKT4_S4_PKT5_llS7_PT6_ll16rocsparse_order_21rocsparse_index_base_b.has_dyn_sized_stack, 0
	.set _ZN9rocsparseL31bsrmm_large_blockdim_kernel_extILj16ELj16ELj2Eii21rocsparse_complex_numIfES2_S2_S2_EEvb20rocsparse_direction_T3_S4_llNS_24const_host_device_scalarIT7_EEPKT2_PKS4_PKT4_S4_PKT5_llS7_PT6_ll16rocsparse_order_21rocsparse_index_base_b.has_recursion, 0
	.set _ZN9rocsparseL31bsrmm_large_blockdim_kernel_extILj16ELj16ELj2Eii21rocsparse_complex_numIfES2_S2_S2_EEvb20rocsparse_direction_T3_S4_llNS_24const_host_device_scalarIT7_EEPKT2_PKS4_PKT4_S4_PKT5_llS7_PT6_ll16rocsparse_order_21rocsparse_index_base_b.has_indirect_call, 0
	.section	.AMDGPU.csdata,"",@progbits
; Kernel info:
; codeLenInByte = 1984
; TotalNumSgprs: 32
; NumVgprs: 32
; ScratchSize: 0
; MemoryBound: 0
; FloatMode: 240
; IeeeMode: 1
; LDSByteSize: 6144 bytes/workgroup (compile time only)
; SGPRBlocks: 0
; VGPRBlocks: 1
; NumSGPRsForWavesPerEU: 32
; NumVGPRsForWavesPerEU: 32
; NamedBarCnt: 0
; Occupancy: 16
; WaveLimiterHint : 1
; COMPUTE_PGM_RSRC2:SCRATCH_EN: 0
; COMPUTE_PGM_RSRC2:USER_SGPR: 2
; COMPUTE_PGM_RSRC2:TRAP_HANDLER: 0
; COMPUTE_PGM_RSRC2:TGID_X_EN: 1
; COMPUTE_PGM_RSRC2:TGID_Y_EN: 1
; COMPUTE_PGM_RSRC2:TGID_Z_EN: 0
; COMPUTE_PGM_RSRC2:TIDIG_COMP_CNT: 1
	.section	.text._ZN9rocsparseL31bsrmm_large_blockdim_kernel_extILj32ELj32ELj2Eii21rocsparse_complex_numIfES2_S2_S2_EEvb20rocsparse_direction_T3_S4_llNS_24const_host_device_scalarIT7_EEPKT2_PKS4_PKT4_S4_PKT5_llS7_PT6_ll16rocsparse_order_21rocsparse_index_base_b,"axG",@progbits,_ZN9rocsparseL31bsrmm_large_blockdim_kernel_extILj32ELj32ELj2Eii21rocsparse_complex_numIfES2_S2_S2_EEvb20rocsparse_direction_T3_S4_llNS_24const_host_device_scalarIT7_EEPKT2_PKS4_PKT4_S4_PKT5_llS7_PT6_ll16rocsparse_order_21rocsparse_index_base_b,comdat
	.globl	_ZN9rocsparseL31bsrmm_large_blockdim_kernel_extILj32ELj32ELj2Eii21rocsparse_complex_numIfES2_S2_S2_EEvb20rocsparse_direction_T3_S4_llNS_24const_host_device_scalarIT7_EEPKT2_PKS4_PKT4_S4_PKT5_llS7_PT6_ll16rocsparse_order_21rocsparse_index_base_b ; -- Begin function _ZN9rocsparseL31bsrmm_large_blockdim_kernel_extILj32ELj32ELj2Eii21rocsparse_complex_numIfES2_S2_S2_EEvb20rocsparse_direction_T3_S4_llNS_24const_host_device_scalarIT7_EEPKT2_PKS4_PKT4_S4_PKT5_llS7_PT6_ll16rocsparse_order_21rocsparse_index_base_b
	.p2align	8
	.type	_ZN9rocsparseL31bsrmm_large_blockdim_kernel_extILj32ELj32ELj2Eii21rocsparse_complex_numIfES2_S2_S2_EEvb20rocsparse_direction_T3_S4_llNS_24const_host_device_scalarIT7_EEPKT2_PKS4_PKT4_S4_PKT5_llS7_PT6_ll16rocsparse_order_21rocsparse_index_base_b,@function
_ZN9rocsparseL31bsrmm_large_blockdim_kernel_extILj32ELj32ELj2Eii21rocsparse_complex_numIfES2_S2_S2_EEvb20rocsparse_direction_T3_S4_llNS_24const_host_device_scalarIT7_EEPKT2_PKS4_PKT4_S4_PKT5_llS7_PT6_ll16rocsparse_order_21rocsparse_index_base_b: ; @_ZN9rocsparseL31bsrmm_large_blockdim_kernel_extILj32ELj32ELj2Eii21rocsparse_complex_numIfES2_S2_S2_EEvb20rocsparse_direction_T3_S4_llNS_24const_host_device_scalarIT7_EEPKT2_PKS4_PKT4_S4_PKT5_llS7_PT6_ll16rocsparse_order_21rocsparse_index_base_b
; %bb.0:
	s_clause 0x2
	s_load_b96 s[20:22], s[0:1], 0x80
	s_load_b64 s[2:3], s[0:1], 0x20
	s_load_b64 s[4:5], s[0:1], 0x60
	v_mov_b32_e32 v1, 0
	s_add_nc_u64 s[6:7], s[0:1], 32
	s_add_nc_u64 s[8:9], s[0:1], 0x60
	s_mov_b32 s24, 0
	s_wait_kmcnt 0x0
	s_bitcmp1_b32 s22, 0
	s_cselect_b32 s3, s7, s3
	s_cselect_b32 s2, s6, s2
	;; [unrolled: 1-line block ×4, first 2 shown]
	s_clause 0x1
	flat_load_b64 v[2:3], v1, s[2:3]
	flat_load_b64 v[4:5], v1, s[4:5]
	s_wait_loadcnt_dscnt 0x101
	v_cmp_eq_f32_e32 vcc_lo, 0, v2
	v_cmp_eq_f32_e64 s3, 0, v3
	s_wait_loadcnt_dscnt 0x0
	v_cmp_eq_f32_e64 s4, 1.0, v4
	v_cmp_eq_f32_e64 s2, 0, v5
	s_and_b32 s3, vcc_lo, s3
	s_and_b32 s4, s4, s2
	s_delay_alu instid0(SALU_CYCLE_1) | instskip(NEXT) | instid1(SALU_CYCLE_1)
	s_and_b32 s3, s3, s4
	s_xor_b32 s3, s3, -1
	s_delay_alu instid0(SALU_CYCLE_1)
	s_and_saveexec_b32 s4, s3
	s_cbranch_execz .LBB27_47
; %bb.1:
	s_clause 0x1
	s_load_b128 s[8:11], s[0:1], 0x0
	s_load_b64 s[4:5], s[0:1], 0x28
	s_bfe_u32 s3, ttmp6, 0x4000c
	s_and_b32 s6, ttmp6, 15
	s_add_co_i32 s3, s3, 1
	s_delay_alu instid0(SALU_CYCLE_1)
	s_mul_i32 s7, ttmp9, s3
	s_getreg_b32 s3, hwreg(HW_REG_IB_STS2, 6, 4)
	s_add_co_i32 s6, s6, s7
	s_cmp_eq_u32 s3, 0
	s_cselect_b32 s22, ttmp9, s6
	s_wait_kmcnt 0x0
	s_cmp_lt_i32 s22, s10
	s_cselect_b32 s7, -1, 0
	s_cmp_ge_i32 s22, s10
	s_cbranch_scc1 .LBB27_3
; %bb.2:
	s_ashr_i32 s23, s22, 31
	s_delay_alu instid0(SALU_CYCLE_1) | instskip(NEXT) | instid1(SALU_CYCLE_1)
	s_lshl_b64 s[12:13], s[22:23], 2
	s_add_nc_u64 s[12:13], s[4:5], s[12:13]
	s_load_b32 s6, s[12:13], 0x0
	s_wait_kmcnt 0x0
	s_sub_co_i32 s24, s6, s21
.LBB27_3:
	s_and_not1_b32 vcc_lo, exec_lo, s7
	s_mov_b32 s23, 0
	s_cbranch_vccnz .LBB27_5
; %bb.4:
	s_ashr_i32 s23, s22, 31
	s_delay_alu instid0(SALU_CYCLE_1) | instskip(NEXT) | instid1(SALU_CYCLE_1)
	s_lshl_b64 s[12:13], s[22:23], 2
	s_add_nc_u64 s[4:5], s[4:5], s[12:13]
	s_load_b32 s4, s[4:5], 0x4
	s_wait_kmcnt 0x0
	s_sub_co_i32 s23, s4, s21
.LBB27_5:
	s_bfe_u32 s4, ttmp6, 0x40010
	s_bfe_u32 s5, ttmp6, 0x40004
	s_add_co_i32 s4, s4, 1
	s_load_b32 s10, s[0:1], 0x40
	s_mul_i32 s4, ttmp7, s4
	v_bfe_u32 v6, v0, 10, 10
	s_add_co_i32 s5, s5, s4
	s_cmp_eq_u32 s3, 0
	v_and_b32_e32 v20, 0x3ff, v0
	s_cselect_b32 s3, ttmp7, s5
	s_cmp_ge_i32 s24, s23
	v_lshl_add_u32 v8, s3, 6, v6
	s_delay_alu instid0(VALU_DEP_1) | instskip(SKIP_1) | instid1(VALU_DEP_2)
	v_add_nc_u32_e32 v0, 32, v8
	v_cmp_gt_i32_e64 s3, s11, v8
	v_cmp_gt_i32_e64 s4, s11, v0
	s_wait_kmcnt 0x0
	v_cmp_gt_i32_e32 vcc_lo, s10, v20
	s_cbranch_scc1 .LBB27_23
; %bb.6:
	s_clause 0x1
	s_load_b128 s[12:15], s[0:1], 0x48
	s_load_b128 s[16:19], s[0:1], 0x30
	v_cmp_gt_i32_e64 s5, s10, v6
	v_mad_u32 v7, s10, v6, v20
	v_mad_u32 v10, s10, v20, v6
	v_dual_ashrrev_i32 v9, 31, v8 :: v_dual_lshlrev_b32 v21, 8, v6
	s_and_b32 s26, vcc_lo, s5
	s_bitcmp1_b32 s8, 0
	v_lshl_or_b32 v16, v6, 3, 0x4000
	s_cselect_b32 s5, -1, 0
	s_cmp_eq_u32 s9, 0
	v_dual_lshlrev_b32 v17, 8, v20 :: v_dual_lshlrev_b32 v18, 3, v20
	s_cselect_b32 s6, -1, 0
	s_delay_alu instid0(VALU_DEP_4) | instid1(SALU_CYCLE_1)
	v_dual_ashrrev_i32 v1, 31, v0 :: v_dual_cndmask_b32 v22, v7, v10, s6
	v_mov_b64_e32 v[10:11], 0
	v_mov_b64_e32 v[6:7], 0
	v_add_nc_u32_e32 v23, 0x4000, v17
	s_wait_kmcnt 0x0
	v_mul_u64_e32 v[12:13], s[14:15], v[8:9]
	v_mul_u64_e32 v[14:15], s[14:15], v[0:1]
	v_add_nc_u32_e32 v24, 0x2000, v21
	v_add_nc_u32_e32 v25, v18, v21
	;; [unrolled: 1-line block ×3, first 2 shown]
	s_mul_i32 s6, s10, s10
	s_branch .LBB27_9
.LBB27_7:                               ;   in Loop: Header=BB27_9 Depth=1
	s_or_b32 exec_lo, exec_lo, s9
.LBB27_8:                               ;   in Loop: Header=BB27_9 Depth=1
	s_delay_alu instid0(SALU_CYCLE_1) | instskip(SKIP_1) | instid1(SALU_CYCLE_1)
	s_or_b32 exec_lo, exec_lo, s8
	s_add_co_i32 s24, s24, 1
	s_cmp_ge_i32 s24, s23
	s_barrier_signal -1
	s_barrier_wait -1
	s_cbranch_scc1 .LBB27_24
.LBB27_9:                               ; =>This Loop Header: Depth=1
                                        ;     Child Loop BB27_19 Depth 2
                                        ;     Child Loop BB27_22 Depth 2
	s_and_saveexec_b32 s8, vcc_lo
	s_cbranch_execz .LBB27_14
; %bb.10:                               ;   in Loop: Header=BB27_9 Depth=1
	s_ashr_i32 s25, s24, 31
	s_delay_alu instid0(SALU_CYCLE_1) | instskip(NEXT) | instid1(SALU_CYCLE_1)
	s_lshl_b64 s[28:29], s[24:25], 2
	s_add_nc_u64 s[28:29], s[16:17], s[28:29]
	s_load_b32 s9, s[28:29], 0x0
	s_wait_kmcnt 0x0
	s_sub_co_i32 s9, s9, s21
	s_delay_alu instid0(SALU_CYCLE_1) | instskip(NEXT) | instid1(VALU_DEP_1)
	v_mad_u32 v18, s9, s10, v20
	v_ashrrev_i32_e32 v19, 31, v18
	s_delay_alu instid0(VALU_DEP_1) | instskip(SKIP_1) | instid1(VALU_DEP_2)
	v_mul_u64_e32 v[16:17], s[14:15], v[18:19]
	v_lshl_add_u64 v[18:19], v[18:19], 3, s[12:13]
	v_lshl_add_u64 v[16:17], v[16:17], 3, s[12:13]
	s_and_saveexec_b32 s9, s3
	s_cbranch_execz .LBB27_12
; %bb.11:                               ;   in Loop: Header=BB27_9 Depth=1
	s_delay_alu instid0(VALU_DEP_1) | instskip(SKIP_1) | instid1(VALU_DEP_1)
	v_lshl_add_u64 v[28:29], v[8:9], 3, v[16:17]
	v_lshl_add_u64 v[30:31], v[12:13], 3, v[18:19]
	v_dual_cndmask_b32 v29, v29, v31, s5 :: v_dual_cndmask_b32 v28, v28, v30, s5
	global_load_b64 v[28:29], v[28:29], off
	s_wait_loadcnt 0x0
	ds_store_b64 v25, v[28:29]
.LBB27_12:                              ;   in Loop: Header=BB27_9 Depth=1
	s_or_b32 exec_lo, exec_lo, s9
	s_delay_alu instid0(SALU_CYCLE_1)
	s_and_b32 exec_lo, exec_lo, s4
	s_cbranch_execz .LBB27_14
; %bb.13:                               ;   in Loop: Header=BB27_9 Depth=1
	v_lshl_add_u64 v[18:19], v[14:15], 3, v[18:19]
	v_lshl_add_u64 v[16:17], v[0:1], 3, v[16:17]
	s_delay_alu instid0(VALU_DEP_1)
	v_dual_cndmask_b32 v17, v17, v19, s5 :: v_dual_cndmask_b32 v16, v16, v18, s5
	global_load_b64 v[16:17], v[16:17], off
	s_wait_loadcnt 0x0
	ds_store_b64 v25, v[16:17] offset:8192
.LBB27_14:                              ;   in Loop: Header=BB27_9 Depth=1
	s_or_b32 exec_lo, exec_lo, s8
	s_and_saveexec_b32 s8, s26
	s_cbranch_execz .LBB27_16
; %bb.15:                               ;   in Loop: Header=BB27_9 Depth=1
	v_mad_u32 v16, s6, s24, v22
	global_load_b64 v[16:17], v16, s[18:19] scale_offset
	s_wait_loadcnt 0x0
	ds_store_b64 v26, v[16:17]
.LBB27_16:                              ;   in Loop: Header=BB27_9 Depth=1
	s_or_b32 exec_lo, exec_lo, s8
	s_wait_dscnt 0x0
	s_barrier_signal -1
	s_barrier_wait -1
	s_and_saveexec_b32 s8, vcc_lo
	s_cbranch_execz .LBB27_8
; %bb.17:                               ;   in Loop: Header=BB27_9 Depth=1
	s_and_saveexec_b32 s9, s3
	s_cbranch_execz .LBB27_20
; %bb.18:                               ;   in Loop: Header=BB27_9 Depth=1
	v_dual_mov_b32 v16, v23 :: v_dual_mov_b32 v17, v21
	s_mov_b32 s25, s10
.LBB27_19:                              ;   Parent Loop BB27_9 Depth=1
                                        ; =>  This Inner Loop Header: Depth=2
	ds_load_b64 v[18:19], v17
	ds_load_b64 v[28:29], v16
	v_dual_add_nc_u32 v17, 8, v17 :: v_dual_add_nc_u32 v16, 8, v16
	s_add_co_i32 s25, s25, -1
	s_delay_alu instid0(SALU_CYCLE_1) | instskip(SKIP_2) | instid1(VALU_DEP_1)
	s_cmp_lg_u32 s25, 0
	s_wait_dscnt 0x0
	v_pk_fma_f32 v[10:11], v[28:29], v[18:19], v[10:11] op_sel_hi:[1,0,1]
	v_pk_fma_f32 v[10:11], v[28:29], v[18:19], v[10:11] op_sel:[1,1,0] op_sel_hi:[0,1,1] neg_lo:[1,0,0]
	s_cbranch_scc1 .LBB27_19
.LBB27_20:                              ;   in Loop: Header=BB27_9 Depth=1
	s_or_b32 exec_lo, exec_lo, s9
	s_and_saveexec_b32 s9, s4
	s_cbranch_execz .LBB27_7
; %bb.21:                               ;   in Loop: Header=BB27_9 Depth=1
	v_dual_mov_b32 v16, v23 :: v_dual_mov_b32 v17, v24
	s_mov_b32 s25, s10
.LBB27_22:                              ;   Parent Loop BB27_9 Depth=1
                                        ; =>  This Inner Loop Header: Depth=2
	ds_load_b64 v[18:19], v17
	ds_load_b64 v[28:29], v16
	v_dual_add_nc_u32 v17, 8, v17 :: v_dual_add_nc_u32 v16, 8, v16
	s_add_co_i32 s25, s25, -1
	s_delay_alu instid0(SALU_CYCLE_1) | instskip(SKIP_2) | instid1(VALU_DEP_1)
	s_cmp_lg_u32 s25, 0
	s_wait_dscnt 0x0
	v_pk_fma_f32 v[6:7], v[28:29], v[18:19], v[6:7] op_sel_hi:[1,0,1]
	v_pk_fma_f32 v[6:7], v[28:29], v[18:19], v[6:7] op_sel:[1,1,0] op_sel_hi:[0,1,1] neg_lo:[1,0,0]
	s_cbranch_scc1 .LBB27_22
	s_branch .LBB27_7
.LBB27_23:
	v_mov_b64_e32 v[6:7], 0
	v_mov_b64_e32 v[10:11], 0
.LBB27_24:
	s_load_b64 s[4:5], s[0:1], 0x68
	s_and_b32 s3, s7, vcc_lo
	s_delay_alu instid0(SALU_CYCLE_1)
	s_and_b32 exec_lo, exec_lo, s3
	s_cbranch_execz .LBB27_47
; %bb.25:
	s_wait_xcnt 0x0
	s_load_b64 s[0:1], s[0:1], 0x70
	v_mad_u32 v12, s10, s22, v20
	v_cmp_neq_f32_e32 vcc_lo, 0, v4
	s_xor_b32 s2, s2, -1
	s_delay_alu instid0(SALU_CYCLE_1) | instskip(SKIP_2) | instid1(VALU_DEP_2)
	s_or_b32 s2, vcc_lo, s2
	s_cmp_lg_u32 s20, 1
	s_cselect_b32 s3, -1, 0
	v_ashrrev_i32_e32 v13, 31, v12
	s_wait_kmcnt 0x0
	s_delay_alu instid0(VALU_DEP_1) | instskip(SKIP_1) | instid1(VALU_DEP_2)
	v_mul_u64_e32 v[14:15], s[0:1], v[12:13]
	v_lshl_add_u64 v[12:13], v[12:13], 3, s[4:5]
	v_lshl_add_u64 v[14:15], v[14:15], 3, s[4:5]
	s_mov_b32 s4, exec_lo
	v_cmpx_gt_i32_e64 s11, v8
	s_cbranch_execz .LBB27_36
; %bb.26:
	v_ashrrev_i32_e32 v9, 31, v8
	s_and_saveexec_b32 s5, s2
	s_delay_alu instid0(SALU_CYCLE_1)
	s_xor_b32 s5, exec_lo, s5
	s_cbranch_execz .LBB27_31
; %bb.27:
	s_and_b32 vcc_lo, exec_lo, s3
	s_mov_b32 s6, -1
	s_cbranch_vccz .LBB27_29
; %bb.28:
	v_lshl_add_u64 v[16:17], v[8:9], 3, v[14:15]
	v_xor_b32_e32 v20, 0x80000000, v3
	v_dual_mov_b32 v21, v2 :: v_dual_mov_b32 v23, v4
	v_xor_b32_e32 v22, 0x80000000, v5
	global_load_b64 v[18:19], v[16:17], off
	s_mov_b32 s6, 0
	v_pk_mul_f32 v[20:21], v[10:11], v[20:21] op_sel:[1,0]
	s_delay_alu instid0(VALU_DEP_1) | instskip(SKIP_1) | instid1(VALU_DEP_1)
	v_pk_fma_f32 v[20:21], v[2:3], v[10:11], v[20:21] op_sel_hi:[1,0,1]
	s_wait_loadcnt 0x0
	v_pk_fma_f32 v[20:21], v[4:5], v[18:19], v[20:21] op_sel_hi:[1,0,1]
	s_delay_alu instid0(VALU_DEP_1)
	v_pk_fma_f32 v[18:19], v[22:23], v[18:19], v[20:21] op_sel:[0,1,0]
	global_store_b64 v[16:17], v[18:19], off
.LBB27_29:
	s_and_not1_b32 vcc_lo, exec_lo, s6
	s_cbranch_vccnz .LBB27_31
; %bb.30:
	v_mul_u64_e32 v[8:9], s[0:1], v[8:9]
	s_wait_xcnt 0x0
	v_xor_b32_e32 v18, 0x80000000, v3
	v_mov_b32_e32 v19, v2
	s_delay_alu instid0(VALU_DEP_1) | instskip(NEXT) | instid1(VALU_DEP_1)
	v_pk_mul_f32 v[18:19], v[10:11], v[18:19] op_sel:[1,0]
	v_pk_fma_f32 v[10:11], v[2:3], v[10:11], v[18:19] op_sel_hi:[1,0,1]
	v_xor_b32_e32 v18, 0x80000000, v5
	v_mov_b32_e32 v19, v4
	v_lshl_add_u64 v[8:9], v[8:9], 3, v[12:13]
	global_load_b64 v[16:17], v[8:9], off
	s_wait_loadcnt 0x0
	v_pk_fma_f32 v[10:11], v[4:5], v[16:17], v[10:11] op_sel_hi:[1,0,1]
	s_delay_alu instid0(VALU_DEP_1)
	v_pk_fma_f32 v[10:11], v[18:19], v[16:17], v[10:11] op_sel:[0,1,0]
	global_store_b64 v[8:9], v[10:11], off
                                        ; implicit-def: $vgpr10_vgpr11
                                        ; implicit-def: $vgpr8
.LBB27_31:
	s_wait_xcnt 0x0
	s_and_not1_saveexec_b32 s5, s5
	s_cbranch_execz .LBB27_36
; %bb.32:
	v_xor_b32_e32 v16, 0x80000000, v3
	v_mov_b32_e32 v17, v2
	s_and_b32 vcc_lo, exec_lo, s3
	s_mov_b32 s5, -1
	s_delay_alu instid0(VALU_DEP_1) | instskip(NEXT) | instid1(VALU_DEP_1)
	v_pk_mul_f32 v[16:17], v[10:11], v[16:17] op_sel:[1,0]
	v_pk_fma_f32 v[10:11], v[2:3], v[10:11], v[16:17] op_sel_hi:[1,0,1]
	s_cbranch_vccz .LBB27_34
; %bb.33:
	v_lshl_add_u64 v[16:17], v[8:9], 3, v[14:15]
	s_mov_b32 s5, 0
	global_store_b64 v[16:17], v[10:11], off
.LBB27_34:
	s_and_not1_b32 vcc_lo, exec_lo, s5
	s_cbranch_vccnz .LBB27_36
; %bb.35:
	v_mul_u64_e32 v[8:9], s[0:1], v[8:9]
	s_delay_alu instid0(VALU_DEP_1)
	v_lshl_add_u64 v[8:9], v[8:9], 3, v[12:13]
	global_store_b64 v[8:9], v[10:11], off
.LBB27_36:
	s_wait_xcnt 0x0
	s_or_b32 exec_lo, exec_lo, s4
	v_cmp_gt_i32_e32 vcc_lo, s11, v0
	s_and_b32 exec_lo, exec_lo, vcc_lo
	s_cbranch_execz .LBB27_47
; %bb.37:
	v_ashrrev_i32_e32 v1, 31, v0
	v_cndmask_b32_e64 v9, 0, 1, s3
	s_and_saveexec_b32 s3, s2
	s_delay_alu instid0(SALU_CYCLE_1)
	s_xor_b32 s2, exec_lo, s3
	s_cbranch_execz .LBB27_42
; %bb.38:
	s_delay_alu instid0(VALU_DEP_1)
	v_cmp_ne_u32_e32 vcc_lo, 1, v9
	v_xor_b32_e32 v8, 0x80000000, v5
	s_mov_b32 s3, -1
	s_cbranch_vccnz .LBB27_40
; %bb.39:
	v_lshl_add_u64 v[10:11], v[0:1], 3, v[14:15]
	v_xor_b32_e32 v16, 0x80000000, v3
	v_dual_mov_b32 v17, v2 :: v_dual_mov_b32 v9, v4
	s_mov_b32 s3, 0
	global_load_b64 v[14:15], v[10:11], off
	v_pk_mul_f32 v[16:17], v[6:7], v[16:17] op_sel:[1,0]
	s_delay_alu instid0(VALU_DEP_1) | instskip(SKIP_1) | instid1(VALU_DEP_1)
	v_pk_fma_f32 v[16:17], v[2:3], v[6:7], v[16:17] op_sel_hi:[1,0,1]
	s_wait_loadcnt 0x0
	v_pk_fma_f32 v[16:17], v[4:5], v[14:15], v[16:17] op_sel_hi:[1,0,1]
	s_delay_alu instid0(VALU_DEP_1)
	v_pk_fma_f32 v[14:15], v[8:9], v[14:15], v[16:17] op_sel:[0,1,0]
	global_store_b64 v[10:11], v[14:15], off
.LBB27_40:
	s_and_not1_b32 vcc_lo, exec_lo, s3
                                        ; implicit-def: $vgpr9
                                        ; implicit-def: $vgpr14_vgpr15
	s_cbranch_vccnz .LBB27_42
; %bb.41:
	v_mul_u64_e32 v[0:1], s[0:1], v[0:1]
                                        ; implicit-def: $vgpr14_vgpr15
	v_mov_b32_e32 v9, v4
	s_delay_alu instid0(VALU_DEP_2) | instskip(SKIP_4) | instid1(VALU_DEP_1)
	v_lshl_add_u64 v[0:1], v[0:1], 3, v[12:13]
	v_xor_b32_e32 v12, 0x80000000, v3
	v_mov_b32_e32 v13, v2
	global_load_b64 v[10:11], v[0:1], off
	v_pk_mul_f32 v[12:13], v[6:7], v[12:13] op_sel:[1,0]
	v_pk_fma_f32 v[2:3], v[2:3], v[6:7], v[12:13] op_sel_hi:[1,0,1]
                                        ; implicit-def: $vgpr12_vgpr13
                                        ; implicit-def: $vgpr6_vgpr7
	s_wait_loadcnt 0x0
	s_delay_alu instid0(VALU_DEP_1) | instskip(NEXT) | instid1(VALU_DEP_1)
	v_pk_fma_f32 v[2:3], v[4:5], v[10:11], v[2:3] op_sel_hi:[1,0,1]
	v_pk_fma_f32 v[2:3], v[8:9], v[10:11], v[2:3] op_sel:[0,1,0]
                                        ; implicit-def: $vgpr9
	global_store_b64 v[0:1], v[2:3], off
                                        ; implicit-def: $vgpr2_vgpr3
                                        ; implicit-def: $vgpr0
.LBB27_42:
	s_wait_xcnt 0x0
	s_and_not1_saveexec_b32 s2, s2
	s_cbranch_execz .LBB27_47
; %bb.43:
	v_xor_b32_e32 v4, 0x80000000, v3
	v_mov_b32_e32 v5, v2
	v_cmp_ne_u32_e32 vcc_lo, 1, v9
	s_mov_b32 s2, -1
	s_delay_alu instid0(VALU_DEP_2) | instskip(NEXT) | instid1(VALU_DEP_1)
	v_pk_mul_f32 v[4:5], v[6:7], v[4:5] op_sel:[1,0]
	v_pk_fma_f32 v[2:3], v[2:3], v[6:7], v[4:5] op_sel_hi:[1,0,1]
	s_cbranch_vccnz .LBB27_45
; %bb.44:
	v_lshl_add_u64 v[4:5], v[0:1], 3, v[14:15]
	s_mov_b32 s2, 0
	global_store_b64 v[4:5], v[2:3], off
.LBB27_45:
	s_and_not1_b32 vcc_lo, exec_lo, s2
	s_cbranch_vccnz .LBB27_47
; %bb.46:
	v_mul_u64_e32 v[0:1], s[0:1], v[0:1]
	s_delay_alu instid0(VALU_DEP_1)
	v_lshl_add_u64 v[0:1], v[0:1], 3, v[12:13]
	global_store_b64 v[0:1], v[2:3], off
.LBB27_47:
	s_endpgm
	.section	.rodata,"a",@progbits
	.p2align	6, 0x0
	.amdhsa_kernel _ZN9rocsparseL31bsrmm_large_blockdim_kernel_extILj32ELj32ELj2Eii21rocsparse_complex_numIfES2_S2_S2_EEvb20rocsparse_direction_T3_S4_llNS_24const_host_device_scalarIT7_EEPKT2_PKS4_PKT4_S4_PKT5_llS7_PT6_ll16rocsparse_order_21rocsparse_index_base_b
		.amdhsa_group_segment_fixed_size 24576
		.amdhsa_private_segment_fixed_size 0
		.amdhsa_kernarg_size 140
		.amdhsa_user_sgpr_count 2
		.amdhsa_user_sgpr_dispatch_ptr 0
		.amdhsa_user_sgpr_queue_ptr 0
		.amdhsa_user_sgpr_kernarg_segment_ptr 1
		.amdhsa_user_sgpr_dispatch_id 0
		.amdhsa_user_sgpr_kernarg_preload_length 0
		.amdhsa_user_sgpr_kernarg_preload_offset 0
		.amdhsa_user_sgpr_private_segment_size 0
		.amdhsa_wavefront_size32 1
		.amdhsa_uses_dynamic_stack 0
		.amdhsa_enable_private_segment 0
		.amdhsa_system_sgpr_workgroup_id_x 1
		.amdhsa_system_sgpr_workgroup_id_y 1
		.amdhsa_system_sgpr_workgroup_id_z 0
		.amdhsa_system_sgpr_workgroup_info 0
		.amdhsa_system_vgpr_workitem_id 1
		.amdhsa_next_free_vgpr 32
		.amdhsa_next_free_sgpr 30
		.amdhsa_named_barrier_count 0
		.amdhsa_reserve_vcc 1
		.amdhsa_float_round_mode_32 0
		.amdhsa_float_round_mode_16_64 0
		.amdhsa_float_denorm_mode_32 3
		.amdhsa_float_denorm_mode_16_64 3
		.amdhsa_fp16_overflow 0
		.amdhsa_memory_ordered 1
		.amdhsa_forward_progress 1
		.amdhsa_inst_pref_size 16
		.amdhsa_round_robin_scheduling 0
		.amdhsa_exception_fp_ieee_invalid_op 0
		.amdhsa_exception_fp_denorm_src 0
		.amdhsa_exception_fp_ieee_div_zero 0
		.amdhsa_exception_fp_ieee_overflow 0
		.amdhsa_exception_fp_ieee_underflow 0
		.amdhsa_exception_fp_ieee_inexact 0
		.amdhsa_exception_int_div_zero 0
	.end_amdhsa_kernel
	.section	.text._ZN9rocsparseL31bsrmm_large_blockdim_kernel_extILj32ELj32ELj2Eii21rocsparse_complex_numIfES2_S2_S2_EEvb20rocsparse_direction_T3_S4_llNS_24const_host_device_scalarIT7_EEPKT2_PKS4_PKT4_S4_PKT5_llS7_PT6_ll16rocsparse_order_21rocsparse_index_base_b,"axG",@progbits,_ZN9rocsparseL31bsrmm_large_blockdim_kernel_extILj32ELj32ELj2Eii21rocsparse_complex_numIfES2_S2_S2_EEvb20rocsparse_direction_T3_S4_llNS_24const_host_device_scalarIT7_EEPKT2_PKS4_PKT4_S4_PKT5_llS7_PT6_ll16rocsparse_order_21rocsparse_index_base_b,comdat
.Lfunc_end27:
	.size	_ZN9rocsparseL31bsrmm_large_blockdim_kernel_extILj32ELj32ELj2Eii21rocsparse_complex_numIfES2_S2_S2_EEvb20rocsparse_direction_T3_S4_llNS_24const_host_device_scalarIT7_EEPKT2_PKS4_PKT4_S4_PKT5_llS7_PT6_ll16rocsparse_order_21rocsparse_index_base_b, .Lfunc_end27-_ZN9rocsparseL31bsrmm_large_blockdim_kernel_extILj32ELj32ELj2Eii21rocsparse_complex_numIfES2_S2_S2_EEvb20rocsparse_direction_T3_S4_llNS_24const_host_device_scalarIT7_EEPKT2_PKS4_PKT4_S4_PKT5_llS7_PT6_ll16rocsparse_order_21rocsparse_index_base_b
                                        ; -- End function
	.set _ZN9rocsparseL31bsrmm_large_blockdim_kernel_extILj32ELj32ELj2Eii21rocsparse_complex_numIfES2_S2_S2_EEvb20rocsparse_direction_T3_S4_llNS_24const_host_device_scalarIT7_EEPKT2_PKS4_PKT4_S4_PKT5_llS7_PT6_ll16rocsparse_order_21rocsparse_index_base_b.num_vgpr, 32
	.set _ZN9rocsparseL31bsrmm_large_blockdim_kernel_extILj32ELj32ELj2Eii21rocsparse_complex_numIfES2_S2_S2_EEvb20rocsparse_direction_T3_S4_llNS_24const_host_device_scalarIT7_EEPKT2_PKS4_PKT4_S4_PKT5_llS7_PT6_ll16rocsparse_order_21rocsparse_index_base_b.num_agpr, 0
	.set _ZN9rocsparseL31bsrmm_large_blockdim_kernel_extILj32ELj32ELj2Eii21rocsparse_complex_numIfES2_S2_S2_EEvb20rocsparse_direction_T3_S4_llNS_24const_host_device_scalarIT7_EEPKT2_PKS4_PKT4_S4_PKT5_llS7_PT6_ll16rocsparse_order_21rocsparse_index_base_b.numbered_sgpr, 30
	.set _ZN9rocsparseL31bsrmm_large_blockdim_kernel_extILj32ELj32ELj2Eii21rocsparse_complex_numIfES2_S2_S2_EEvb20rocsparse_direction_T3_S4_llNS_24const_host_device_scalarIT7_EEPKT2_PKS4_PKT4_S4_PKT5_llS7_PT6_ll16rocsparse_order_21rocsparse_index_base_b.num_named_barrier, 0
	.set _ZN9rocsparseL31bsrmm_large_blockdim_kernel_extILj32ELj32ELj2Eii21rocsparse_complex_numIfES2_S2_S2_EEvb20rocsparse_direction_T3_S4_llNS_24const_host_device_scalarIT7_EEPKT2_PKS4_PKT4_S4_PKT5_llS7_PT6_ll16rocsparse_order_21rocsparse_index_base_b.private_seg_size, 0
	.set _ZN9rocsparseL31bsrmm_large_blockdim_kernel_extILj32ELj32ELj2Eii21rocsparse_complex_numIfES2_S2_S2_EEvb20rocsparse_direction_T3_S4_llNS_24const_host_device_scalarIT7_EEPKT2_PKS4_PKT4_S4_PKT5_llS7_PT6_ll16rocsparse_order_21rocsparse_index_base_b.uses_vcc, 1
	.set _ZN9rocsparseL31bsrmm_large_blockdim_kernel_extILj32ELj32ELj2Eii21rocsparse_complex_numIfES2_S2_S2_EEvb20rocsparse_direction_T3_S4_llNS_24const_host_device_scalarIT7_EEPKT2_PKS4_PKT4_S4_PKT5_llS7_PT6_ll16rocsparse_order_21rocsparse_index_base_b.uses_flat_scratch, 1
	.set _ZN9rocsparseL31bsrmm_large_blockdim_kernel_extILj32ELj32ELj2Eii21rocsparse_complex_numIfES2_S2_S2_EEvb20rocsparse_direction_T3_S4_llNS_24const_host_device_scalarIT7_EEPKT2_PKS4_PKT4_S4_PKT5_llS7_PT6_ll16rocsparse_order_21rocsparse_index_base_b.has_dyn_sized_stack, 0
	.set _ZN9rocsparseL31bsrmm_large_blockdim_kernel_extILj32ELj32ELj2Eii21rocsparse_complex_numIfES2_S2_S2_EEvb20rocsparse_direction_T3_S4_llNS_24const_host_device_scalarIT7_EEPKT2_PKS4_PKT4_S4_PKT5_llS7_PT6_ll16rocsparse_order_21rocsparse_index_base_b.has_recursion, 0
	.set _ZN9rocsparseL31bsrmm_large_blockdim_kernel_extILj32ELj32ELj2Eii21rocsparse_complex_numIfES2_S2_S2_EEvb20rocsparse_direction_T3_S4_llNS_24const_host_device_scalarIT7_EEPKT2_PKS4_PKT4_S4_PKT5_llS7_PT6_ll16rocsparse_order_21rocsparse_index_base_b.has_indirect_call, 0
	.section	.AMDGPU.csdata,"",@progbits
; Kernel info:
; codeLenInByte = 1984
; TotalNumSgprs: 32
; NumVgprs: 32
; ScratchSize: 0
; MemoryBound: 0
; FloatMode: 240
; IeeeMode: 1
; LDSByteSize: 24576 bytes/workgroup (compile time only)
; SGPRBlocks: 0
; VGPRBlocks: 1
; NumSGPRsForWavesPerEU: 32
; NumVGPRsForWavesPerEU: 32
; NamedBarCnt: 0
; Occupancy: 16
; WaveLimiterHint : 1
; COMPUTE_PGM_RSRC2:SCRATCH_EN: 0
; COMPUTE_PGM_RSRC2:USER_SGPR: 2
; COMPUTE_PGM_RSRC2:TRAP_HANDLER: 0
; COMPUTE_PGM_RSRC2:TGID_X_EN: 1
; COMPUTE_PGM_RSRC2:TGID_Y_EN: 1
; COMPUTE_PGM_RSRC2:TGID_Z_EN: 0
; COMPUTE_PGM_RSRC2:TIDIG_COMP_CNT: 1
	.section	.text._ZN9rocsparseL31bsrmm_large_blockdim_kernel_extILj8ELj8ELj2Eli21rocsparse_complex_numIfES2_S2_S2_EEvb20rocsparse_direction_T3_S4_llNS_24const_host_device_scalarIT7_EEPKT2_PKS4_PKT4_S4_PKT5_llS7_PT6_ll16rocsparse_order_21rocsparse_index_base_b,"axG",@progbits,_ZN9rocsparseL31bsrmm_large_blockdim_kernel_extILj8ELj8ELj2Eli21rocsparse_complex_numIfES2_S2_S2_EEvb20rocsparse_direction_T3_S4_llNS_24const_host_device_scalarIT7_EEPKT2_PKS4_PKT4_S4_PKT5_llS7_PT6_ll16rocsparse_order_21rocsparse_index_base_b,comdat
	.globl	_ZN9rocsparseL31bsrmm_large_blockdim_kernel_extILj8ELj8ELj2Eli21rocsparse_complex_numIfES2_S2_S2_EEvb20rocsparse_direction_T3_S4_llNS_24const_host_device_scalarIT7_EEPKT2_PKS4_PKT4_S4_PKT5_llS7_PT6_ll16rocsparse_order_21rocsparse_index_base_b ; -- Begin function _ZN9rocsparseL31bsrmm_large_blockdim_kernel_extILj8ELj8ELj2Eli21rocsparse_complex_numIfES2_S2_S2_EEvb20rocsparse_direction_T3_S4_llNS_24const_host_device_scalarIT7_EEPKT2_PKS4_PKT4_S4_PKT5_llS7_PT6_ll16rocsparse_order_21rocsparse_index_base_b
	.p2align	8
	.type	_ZN9rocsparseL31bsrmm_large_blockdim_kernel_extILj8ELj8ELj2Eli21rocsparse_complex_numIfES2_S2_S2_EEvb20rocsparse_direction_T3_S4_llNS_24const_host_device_scalarIT7_EEPKT2_PKS4_PKT4_S4_PKT5_llS7_PT6_ll16rocsparse_order_21rocsparse_index_base_b,@function
_ZN9rocsparseL31bsrmm_large_blockdim_kernel_extILj8ELj8ELj2Eli21rocsparse_complex_numIfES2_S2_S2_EEvb20rocsparse_direction_T3_S4_llNS_24const_host_device_scalarIT7_EEPKT2_PKS4_PKT4_S4_PKT5_llS7_PT6_ll16rocsparse_order_21rocsparse_index_base_b: ; @_ZN9rocsparseL31bsrmm_large_blockdim_kernel_extILj8ELj8ELj2Eli21rocsparse_complex_numIfES2_S2_S2_EEvb20rocsparse_direction_T3_S4_llNS_24const_host_device_scalarIT7_EEPKT2_PKS4_PKT4_S4_PKT5_llS7_PT6_ll16rocsparse_order_21rocsparse_index_base_b
; %bb.0:
	s_clause 0x2
	s_load_b96 s[20:22], s[0:1], 0x80
	s_load_b64 s[2:3], s[0:1], 0x20
	s_load_b64 s[4:5], s[0:1], 0x60
	v_mov_b32_e32 v1, 0
	s_add_nc_u64 s[6:7], s[0:1], 32
	s_add_nc_u64 s[8:9], s[0:1], 0x60
	s_wait_kmcnt 0x0
	s_bitcmp1_b32 s22, 0
	s_cselect_b32 s3, s7, s3
	s_cselect_b32 s2, s6, s2
	;; [unrolled: 1-line block ×4, first 2 shown]
	s_clause 0x1
	flat_load_b64 v[2:3], v1, s[2:3]
	flat_load_b64 v[4:5], v1, s[4:5]
	s_wait_loadcnt_dscnt 0x101
	v_cmp_eq_f32_e32 vcc_lo, 0, v2
	v_cmp_eq_f32_e64 s3, 0, v3
	s_wait_loadcnt_dscnt 0x0
	v_cmp_eq_f32_e64 s4, 1.0, v4
	v_cmp_eq_f32_e64 s2, 0, v5
	s_and_b32 s3, vcc_lo, s3
	s_and_b32 s4, s4, s2
	s_delay_alu instid0(SALU_CYCLE_1) | instskip(NEXT) | instid1(SALU_CYCLE_1)
	s_and_b32 s3, s3, s4
	s_xor_b32 s3, s3, -1
	s_delay_alu instid0(SALU_CYCLE_1)
	s_and_saveexec_b32 s4, s3
	s_cbranch_execz .LBB28_47
; %bb.1:
	s_clause 0x1
	s_load_b128 s[8:11], s[0:1], 0x0
	s_load_b64 s[4:5], s[0:1], 0x28
	s_bfe_u32 s3, ttmp6, 0x4000c
	s_and_b32 s6, ttmp6, 15
	s_add_co_i32 s3, s3, 1
	s_mov_b64 s[24:25], 0
	s_mul_i32 s7, ttmp9, s3
	s_getreg_b32 s3, hwreg(HW_REG_IB_STS2, 6, 4)
	s_add_co_i32 s6, s6, s7
	s_cmp_eq_u32 s3, 0
	s_mov_b64 s[26:27], 0
	s_cselect_b32 s22, ttmp9, s6
	s_wait_kmcnt 0x0
	s_cmp_lt_i32 s22, s10
	s_cselect_b32 s7, -1, 0
	s_cmp_ge_i32 s22, s10
	s_cbranch_scc1 .LBB28_3
; %bb.2:
	s_ashr_i32 s23, s22, 31
	s_mov_b32 s15, 0
	s_lshl_b64 s[12:13], s[22:23], 3
	s_mov_b32 s14, s21
	s_add_nc_u64 s[12:13], s[4:5], s[12:13]
	s_load_b64 s[12:13], s[12:13], 0x0
	s_wait_kmcnt 0x0
	s_sub_nc_u64 s[26:27], s[12:13], s[14:15]
.LBB28_3:
	s_and_not1_b32 vcc_lo, exec_lo, s7
	s_cbranch_vccnz .LBB28_5
; %bb.4:
	s_ashr_i32 s23, s22, 31
	s_delay_alu instid0(SALU_CYCLE_1) | instskip(NEXT) | instid1(SALU_CYCLE_1)
	s_lshl_b64 s[12:13], s[22:23], 3
	s_add_nc_u64 s[4:5], s[4:5], s[12:13]
	s_mov_b32 s13, 0
	s_load_b64 s[4:5], s[4:5], 0x8
	s_mov_b32 s12, s21
	s_wait_kmcnt 0x0
	s_sub_nc_u64 s[24:25], s[4:5], s[12:13]
.LBB28_5:
	s_bfe_u32 s4, ttmp6, 0x40010
	s_load_b32 s10, s[0:1], 0x40
	s_add_co_i32 s4, s4, 1
	s_bfe_u32 s5, ttmp6, 0x40004
	s_mul_i32 s4, ttmp7, s4
	v_bfe_u32 v6, v0, 10, 10
	s_add_co_i32 s5, s5, s4
	s_cmp_eq_u32 s3, 0
	v_and_b32_e32 v22, 0x3ff, v0
	s_cselect_b32 s3, ttmp7, s5
	s_mov_b32 s29, 0
	v_lshl_add_u32 v8, s3, 4, v6
	v_cmp_ge_i64_e64 s3, s[26:27], s[24:25]
	s_delay_alu instid0(VALU_DEP_2)
	v_add_nc_u32_e32 v0, 8, v8
	v_cmp_gt_i32_e64 s4, s11, v8
	s_and_b32 vcc_lo, exec_lo, s3
	s_wait_kmcnt 0x0
	v_cmp_gt_i32_e64 s3, s10, v22
	v_cmp_gt_i32_e64 s5, s11, v0
	s_cbranch_vccnz .LBB28_23
; %bb.6:
	s_clause 0x1
	s_load_b128 s[12:15], s[0:1], 0x30
	s_load_b128 s[16:19], s[0:1], 0x48
	v_mul_lo_u32 v10, s10, v6
	v_dual_mov_b32 v11, 0 :: v_dual_ashrrev_i32 v9, 31, v8
	v_dual_ashrrev_i32 v1, 31, v0 :: v_dual_lshlrev_b32 v18, 3, v6
	v_cmp_gt_i32_e32 vcc_lo, s10, v6
	s_delay_alu instid0(VALU_DEP_3) | instskip(SKIP_2) | instid1(VALU_DEP_1)
	v_dual_mov_b32 v21, v11 :: v_dual_lshlrev_b32 v20, 3, v22
	v_dual_mov_b32 v19, v11 :: v_dual_lshlrev_b32 v23, 6, v6
	s_mul_i32 s28, s10, s10
	v_add_nc_u32_e32 v26, v20, v23
	v_add_nc_u32_e32 v25, 0x200, v23
	s_wait_kmcnt 0x0
	v_lshl_add_u64 v[16:17], v[10:11], 3, s[14:15]
	v_mul_u64_e32 v[12:13], s[18:19], v[8:9]
	v_mul_u64_e32 v[14:15], s[18:19], v[0:1]
	v_mul_lo_u32 v10, s10, v22
	s_delay_alu instid0(VALU_DEP_4) | instskip(NEXT) | instid1(VALU_DEP_2)
	v_add_nc_u64_e32 v[6:7], v[16:17], v[20:21]
	v_lshl_add_u64 v[10:11], v[10:11], 3, s[14:15]
	s_and_b32 s14, s3, vcc_lo
	s_bitcmp1_b32 s8, 0
	s_cselect_b32 s6, -1, 0
	s_delay_alu instid0(VALU_DEP_1)
	v_add_nc_u64_e32 v[10:11], v[10:11], v[18:19]
	s_cmp_eq_u32 s9, 0
	v_add_nc_u32_e32 v18, 0x400, v18
	s_cselect_b32 vcc_lo, -1, 0
	s_delay_alu instid0(VALU_DEP_2) | instid1(SALU_CYCLE_1)
	v_dual_lshlrev_b32 v27, 6, v22 :: v_dual_cndmask_b32 v17, v7, v11, vcc_lo
	s_delay_alu instid0(VALU_DEP_3) | instskip(SKIP_2) | instid1(VALU_DEP_4)
	v_cndmask_b32_e32 v16, v6, v10, vcc_lo
	v_mov_b64_e32 v[10:11], 0
	v_mov_b64_e32 v[6:7], 0
	v_add_nc_u32_e32 v24, 0x400, v27
	v_add_nc_u32_e32 v27, v18, v27
	s_branch .LBB28_9
.LBB28_7:                               ;   in Loop: Header=BB28_9 Depth=1
	s_or_b32 exec_lo, exec_lo, s9
.LBB28_8:                               ;   in Loop: Header=BB28_9 Depth=1
	s_delay_alu instid0(SALU_CYCLE_1) | instskip(SKIP_1) | instid1(SALU_CYCLE_1)
	s_or_b32 exec_lo, exec_lo, s8
	s_add_nc_u64 s[26:27], s[26:27], 1
	v_cmp_ge_i64_e64 s8, s[26:27], s[24:25]
	s_barrier_signal -1
	s_barrier_wait -1
	s_and_b32 vcc_lo, exec_lo, s8
	s_cbranch_vccnz .LBB28_24
.LBB28_9:                               ; =>This Loop Header: Depth=1
                                        ;     Child Loop BB28_19 Depth 2
                                        ;     Child Loop BB28_22 Depth 2
	s_and_saveexec_b32 s8, s3
	s_cbranch_execz .LBB28_14
; %bb.10:                               ;   in Loop: Header=BB28_9 Depth=1
	s_lshl_b64 s[30:31], s[26:27], 2
	s_delay_alu instid0(SALU_CYCLE_1) | instskip(SKIP_3) | instid1(SALU_CYCLE_1)
	s_add_nc_u64 s[30:31], s[12:13], s[30:31]
	s_load_b32 s9, s[30:31], 0x0
	s_wait_kmcnt 0x0
	s_sub_co_i32 s9, s9, s21
	v_mad_u32 v20, s9, s10, v22
	s_delay_alu instid0(VALU_DEP_1) | instskip(NEXT) | instid1(VALU_DEP_1)
	v_ashrrev_i32_e32 v21, 31, v20
	v_mul_u64_e32 v[18:19], s[18:19], v[20:21]
	v_lshl_add_u64 v[20:21], v[20:21], 3, s[16:17]
	s_delay_alu instid0(VALU_DEP_2)
	v_lshl_add_u64 v[18:19], v[18:19], 3, s[16:17]
	s_and_saveexec_b32 s9, s4
	s_cbranch_execz .LBB28_12
; %bb.11:                               ;   in Loop: Header=BB28_9 Depth=1
	s_delay_alu instid0(VALU_DEP_1) | instskip(SKIP_1) | instid1(VALU_DEP_1)
	v_lshl_add_u64 v[28:29], v[8:9], 3, v[18:19]
	v_lshl_add_u64 v[30:31], v[12:13], 3, v[20:21]
	v_dual_cndmask_b32 v29, v29, v31, s6 :: v_dual_cndmask_b32 v28, v28, v30, s6
	global_load_b64 v[28:29], v[28:29], off
	s_wait_loadcnt 0x0
	ds_store_b64 v26, v[28:29]
.LBB28_12:                              ;   in Loop: Header=BB28_9 Depth=1
	s_or_b32 exec_lo, exec_lo, s9
	s_delay_alu instid0(SALU_CYCLE_1)
	s_and_b32 exec_lo, exec_lo, s5
	s_cbranch_execz .LBB28_14
; %bb.13:                               ;   in Loop: Header=BB28_9 Depth=1
	v_lshl_add_u64 v[20:21], v[14:15], 3, v[20:21]
	v_lshl_add_u64 v[18:19], v[0:1], 3, v[18:19]
	s_delay_alu instid0(VALU_DEP_1)
	v_dual_cndmask_b32 v19, v19, v21, s6 :: v_dual_cndmask_b32 v18, v18, v20, s6
	global_load_b64 v[18:19], v[18:19], off
	s_wait_loadcnt 0x0
	ds_store_b64 v26, v[18:19] offset:512
.LBB28_14:                              ;   in Loop: Header=BB28_9 Depth=1
	s_or_b32 exec_lo, exec_lo, s8
	s_and_saveexec_b32 s8, s14
	s_cbranch_execz .LBB28_16
; %bb.15:                               ;   in Loop: Header=BB28_9 Depth=1
	s_mul_u64 s[30:31], s[26:27], s[28:29]
	s_delay_alu instid0(SALU_CYCLE_1)
	v_lshl_add_u64 v[18:19], s[30:31], 3, v[16:17]
	global_load_b64 v[18:19], v[18:19], off
	s_wait_loadcnt 0x0
	ds_store_b64 v27, v[18:19]
.LBB28_16:                              ;   in Loop: Header=BB28_9 Depth=1
	s_or_b32 exec_lo, exec_lo, s8
	s_wait_dscnt 0x0
	s_barrier_signal -1
	s_barrier_wait -1
	s_and_saveexec_b32 s8, s3
	s_cbranch_execz .LBB28_8
; %bb.17:                               ;   in Loop: Header=BB28_9 Depth=1
	s_and_saveexec_b32 s9, s4
	s_cbranch_execz .LBB28_20
; %bb.18:                               ;   in Loop: Header=BB28_9 Depth=1
	v_dual_mov_b32 v18, v24 :: v_dual_mov_b32 v19, v23
	s_mov_b32 s15, s10
.LBB28_19:                              ;   Parent Loop BB28_9 Depth=1
                                        ; =>  This Inner Loop Header: Depth=2
	ds_load_b64 v[20:21], v19
	ds_load_b64 v[28:29], v18
	v_dual_add_nc_u32 v19, 8, v19 :: v_dual_add_nc_u32 v18, 8, v18
	s_add_co_i32 s15, s15, -1
	s_delay_alu instid0(SALU_CYCLE_1) | instskip(SKIP_2) | instid1(VALU_DEP_1)
	s_cmp_lg_u32 s15, 0
	s_wait_dscnt 0x0
	v_pk_fma_f32 v[10:11], v[28:29], v[20:21], v[10:11] op_sel_hi:[1,0,1]
	v_pk_fma_f32 v[10:11], v[28:29], v[20:21], v[10:11] op_sel:[1,1,0] op_sel_hi:[0,1,1] neg_lo:[1,0,0]
	s_cbranch_scc1 .LBB28_19
.LBB28_20:                              ;   in Loop: Header=BB28_9 Depth=1
	s_or_b32 exec_lo, exec_lo, s9
	s_and_saveexec_b32 s9, s5
	s_cbranch_execz .LBB28_7
; %bb.21:                               ;   in Loop: Header=BB28_9 Depth=1
	v_dual_mov_b32 v18, v24 :: v_dual_mov_b32 v19, v25
	s_mov_b32 s15, s10
.LBB28_22:                              ;   Parent Loop BB28_9 Depth=1
                                        ; =>  This Inner Loop Header: Depth=2
	ds_load_b64 v[20:21], v19
	ds_load_b64 v[28:29], v18
	v_dual_add_nc_u32 v19, 8, v19 :: v_dual_add_nc_u32 v18, 8, v18
	s_add_co_i32 s15, s15, -1
	s_delay_alu instid0(SALU_CYCLE_1) | instskip(SKIP_2) | instid1(VALU_DEP_1)
	s_cmp_lg_u32 s15, 0
	s_wait_dscnt 0x0
	v_pk_fma_f32 v[6:7], v[28:29], v[20:21], v[6:7] op_sel_hi:[1,0,1]
	v_pk_fma_f32 v[6:7], v[28:29], v[20:21], v[6:7] op_sel:[1,1,0] op_sel_hi:[0,1,1] neg_lo:[1,0,0]
	s_cbranch_scc1 .LBB28_22
	s_branch .LBB28_7
.LBB28_23:
	v_mov_b64_e32 v[6:7], 0
	v_mov_b64_e32 v[10:11], 0
.LBB28_24:
	s_load_b64 s[4:5], s[0:1], 0x68
	s_and_b32 s3, s7, s3
	s_delay_alu instid0(SALU_CYCLE_1)
	s_and_b32 exec_lo, exec_lo, s3
	s_cbranch_execz .LBB28_47
; %bb.25:
	s_wait_xcnt 0x0
	s_load_b64 s[0:1], s[0:1], 0x70
	v_mad_u32 v12, s10, s22, v22
	v_cmp_neq_f32_e32 vcc_lo, 0, v4
	s_xor_b32 s2, s2, -1
	s_delay_alu instid0(SALU_CYCLE_1) | instskip(SKIP_2) | instid1(VALU_DEP_2)
	s_or_b32 s2, vcc_lo, s2
	s_cmp_lg_u32 s20, 1
	s_cselect_b32 s3, -1, 0
	v_ashrrev_i32_e32 v13, 31, v12
	s_wait_kmcnt 0x0
	s_delay_alu instid0(VALU_DEP_1) | instskip(SKIP_1) | instid1(VALU_DEP_2)
	v_mul_u64_e32 v[14:15], s[0:1], v[12:13]
	v_lshl_add_u64 v[12:13], v[12:13], 3, s[4:5]
	v_lshl_add_u64 v[14:15], v[14:15], 3, s[4:5]
	s_mov_b32 s4, exec_lo
	v_cmpx_gt_i32_e64 s11, v8
	s_cbranch_execz .LBB28_36
; %bb.26:
	v_ashrrev_i32_e32 v9, 31, v8
	s_and_saveexec_b32 s5, s2
	s_delay_alu instid0(SALU_CYCLE_1)
	s_xor_b32 s5, exec_lo, s5
	s_cbranch_execz .LBB28_31
; %bb.27:
	s_and_b32 vcc_lo, exec_lo, s3
	s_mov_b32 s6, -1
	s_cbranch_vccz .LBB28_29
; %bb.28:
	v_lshl_add_u64 v[16:17], v[8:9], 3, v[14:15]
	v_xor_b32_e32 v20, 0x80000000, v3
	v_dual_mov_b32 v21, v2 :: v_dual_mov_b32 v23, v4
	v_xor_b32_e32 v22, 0x80000000, v5
	global_load_b64 v[18:19], v[16:17], off
	s_mov_b32 s6, 0
	v_pk_mul_f32 v[20:21], v[10:11], v[20:21] op_sel:[1,0]
	s_delay_alu instid0(VALU_DEP_1) | instskip(SKIP_1) | instid1(VALU_DEP_1)
	v_pk_fma_f32 v[20:21], v[2:3], v[10:11], v[20:21] op_sel_hi:[1,0,1]
	s_wait_loadcnt 0x0
	v_pk_fma_f32 v[20:21], v[4:5], v[18:19], v[20:21] op_sel_hi:[1,0,1]
	s_delay_alu instid0(VALU_DEP_1)
	v_pk_fma_f32 v[18:19], v[22:23], v[18:19], v[20:21] op_sel:[0,1,0]
	global_store_b64 v[16:17], v[18:19], off
.LBB28_29:
	s_and_not1_b32 vcc_lo, exec_lo, s6
	s_cbranch_vccnz .LBB28_31
; %bb.30:
	v_mul_u64_e32 v[8:9], s[0:1], v[8:9]
	s_wait_xcnt 0x0
	v_xor_b32_e32 v18, 0x80000000, v3
	v_mov_b32_e32 v19, v2
	s_delay_alu instid0(VALU_DEP_1) | instskip(NEXT) | instid1(VALU_DEP_1)
	v_pk_mul_f32 v[18:19], v[10:11], v[18:19] op_sel:[1,0]
	v_pk_fma_f32 v[10:11], v[2:3], v[10:11], v[18:19] op_sel_hi:[1,0,1]
	v_xor_b32_e32 v18, 0x80000000, v5
	v_mov_b32_e32 v19, v4
	v_lshl_add_u64 v[8:9], v[8:9], 3, v[12:13]
	global_load_b64 v[16:17], v[8:9], off
	s_wait_loadcnt 0x0
	v_pk_fma_f32 v[10:11], v[4:5], v[16:17], v[10:11] op_sel_hi:[1,0,1]
	s_delay_alu instid0(VALU_DEP_1)
	v_pk_fma_f32 v[10:11], v[18:19], v[16:17], v[10:11] op_sel:[0,1,0]
	global_store_b64 v[8:9], v[10:11], off
                                        ; implicit-def: $vgpr10_vgpr11
                                        ; implicit-def: $vgpr8
.LBB28_31:
	s_wait_xcnt 0x0
	s_and_not1_saveexec_b32 s5, s5
	s_cbranch_execz .LBB28_36
; %bb.32:
	v_xor_b32_e32 v16, 0x80000000, v3
	v_mov_b32_e32 v17, v2
	s_and_b32 vcc_lo, exec_lo, s3
	s_mov_b32 s5, -1
	s_delay_alu instid0(VALU_DEP_1) | instskip(NEXT) | instid1(VALU_DEP_1)
	v_pk_mul_f32 v[16:17], v[10:11], v[16:17] op_sel:[1,0]
	v_pk_fma_f32 v[10:11], v[2:3], v[10:11], v[16:17] op_sel_hi:[1,0,1]
	s_cbranch_vccz .LBB28_34
; %bb.33:
	v_lshl_add_u64 v[16:17], v[8:9], 3, v[14:15]
	s_mov_b32 s5, 0
	global_store_b64 v[16:17], v[10:11], off
.LBB28_34:
	s_and_not1_b32 vcc_lo, exec_lo, s5
	s_cbranch_vccnz .LBB28_36
; %bb.35:
	v_mul_u64_e32 v[8:9], s[0:1], v[8:9]
	s_delay_alu instid0(VALU_DEP_1)
	v_lshl_add_u64 v[8:9], v[8:9], 3, v[12:13]
	global_store_b64 v[8:9], v[10:11], off
.LBB28_36:
	s_wait_xcnt 0x0
	s_or_b32 exec_lo, exec_lo, s4
	v_cmp_gt_i32_e32 vcc_lo, s11, v0
	s_and_b32 exec_lo, exec_lo, vcc_lo
	s_cbranch_execz .LBB28_47
; %bb.37:
	v_ashrrev_i32_e32 v1, 31, v0
	v_cndmask_b32_e64 v9, 0, 1, s3
	s_and_saveexec_b32 s3, s2
	s_delay_alu instid0(SALU_CYCLE_1)
	s_xor_b32 s2, exec_lo, s3
	s_cbranch_execz .LBB28_42
; %bb.38:
	s_delay_alu instid0(VALU_DEP_1)
	v_cmp_ne_u32_e32 vcc_lo, 1, v9
	v_xor_b32_e32 v8, 0x80000000, v5
	s_mov_b32 s3, -1
	s_cbranch_vccnz .LBB28_40
; %bb.39:
	v_lshl_add_u64 v[10:11], v[0:1], 3, v[14:15]
	v_xor_b32_e32 v16, 0x80000000, v3
	v_dual_mov_b32 v17, v2 :: v_dual_mov_b32 v9, v4
	s_mov_b32 s3, 0
	global_load_b64 v[14:15], v[10:11], off
	v_pk_mul_f32 v[16:17], v[6:7], v[16:17] op_sel:[1,0]
	s_delay_alu instid0(VALU_DEP_1) | instskip(SKIP_1) | instid1(VALU_DEP_1)
	v_pk_fma_f32 v[16:17], v[2:3], v[6:7], v[16:17] op_sel_hi:[1,0,1]
	s_wait_loadcnt 0x0
	v_pk_fma_f32 v[16:17], v[4:5], v[14:15], v[16:17] op_sel_hi:[1,0,1]
	s_delay_alu instid0(VALU_DEP_1)
	v_pk_fma_f32 v[14:15], v[8:9], v[14:15], v[16:17] op_sel:[0,1,0]
	global_store_b64 v[10:11], v[14:15], off
.LBB28_40:
	s_and_not1_b32 vcc_lo, exec_lo, s3
                                        ; implicit-def: $vgpr9
                                        ; implicit-def: $vgpr14_vgpr15
	s_cbranch_vccnz .LBB28_42
; %bb.41:
	v_mul_u64_e32 v[0:1], s[0:1], v[0:1]
                                        ; implicit-def: $vgpr14_vgpr15
	v_mov_b32_e32 v9, v4
	s_delay_alu instid0(VALU_DEP_2) | instskip(SKIP_4) | instid1(VALU_DEP_1)
	v_lshl_add_u64 v[0:1], v[0:1], 3, v[12:13]
	v_xor_b32_e32 v12, 0x80000000, v3
	v_mov_b32_e32 v13, v2
	global_load_b64 v[10:11], v[0:1], off
	v_pk_mul_f32 v[12:13], v[6:7], v[12:13] op_sel:[1,0]
	v_pk_fma_f32 v[2:3], v[2:3], v[6:7], v[12:13] op_sel_hi:[1,0,1]
                                        ; implicit-def: $vgpr12_vgpr13
                                        ; implicit-def: $vgpr6_vgpr7
	s_wait_loadcnt 0x0
	s_delay_alu instid0(VALU_DEP_1) | instskip(NEXT) | instid1(VALU_DEP_1)
	v_pk_fma_f32 v[2:3], v[4:5], v[10:11], v[2:3] op_sel_hi:[1,0,1]
	v_pk_fma_f32 v[2:3], v[8:9], v[10:11], v[2:3] op_sel:[0,1,0]
                                        ; implicit-def: $vgpr9
	global_store_b64 v[0:1], v[2:3], off
                                        ; implicit-def: $vgpr2_vgpr3
                                        ; implicit-def: $vgpr0
.LBB28_42:
	s_wait_xcnt 0x0
	s_and_not1_saveexec_b32 s2, s2
	s_cbranch_execz .LBB28_47
; %bb.43:
	v_xor_b32_e32 v4, 0x80000000, v3
	v_mov_b32_e32 v5, v2
	v_cmp_ne_u32_e32 vcc_lo, 1, v9
	s_mov_b32 s2, -1
	s_delay_alu instid0(VALU_DEP_2) | instskip(NEXT) | instid1(VALU_DEP_1)
	v_pk_mul_f32 v[4:5], v[6:7], v[4:5] op_sel:[1,0]
	v_pk_fma_f32 v[2:3], v[2:3], v[6:7], v[4:5] op_sel_hi:[1,0,1]
	s_cbranch_vccnz .LBB28_45
; %bb.44:
	v_lshl_add_u64 v[4:5], v[0:1], 3, v[14:15]
	s_mov_b32 s2, 0
	global_store_b64 v[4:5], v[2:3], off
.LBB28_45:
	s_and_not1_b32 vcc_lo, exec_lo, s2
	s_cbranch_vccnz .LBB28_47
; %bb.46:
	v_mul_u64_e32 v[0:1], s[0:1], v[0:1]
	s_delay_alu instid0(VALU_DEP_1)
	v_lshl_add_u64 v[0:1], v[0:1], 3, v[12:13]
	global_store_b64 v[0:1], v[2:3], off
.LBB28_47:
	s_endpgm
	.section	.rodata,"a",@progbits
	.p2align	6, 0x0
	.amdhsa_kernel _ZN9rocsparseL31bsrmm_large_blockdim_kernel_extILj8ELj8ELj2Eli21rocsparse_complex_numIfES2_S2_S2_EEvb20rocsparse_direction_T3_S4_llNS_24const_host_device_scalarIT7_EEPKT2_PKS4_PKT4_S4_PKT5_llS7_PT6_ll16rocsparse_order_21rocsparse_index_base_b
		.amdhsa_group_segment_fixed_size 1536
		.amdhsa_private_segment_fixed_size 0
		.amdhsa_kernarg_size 140
		.amdhsa_user_sgpr_count 2
		.amdhsa_user_sgpr_dispatch_ptr 0
		.amdhsa_user_sgpr_queue_ptr 0
		.amdhsa_user_sgpr_kernarg_segment_ptr 1
		.amdhsa_user_sgpr_dispatch_id 0
		.amdhsa_user_sgpr_kernarg_preload_length 0
		.amdhsa_user_sgpr_kernarg_preload_offset 0
		.amdhsa_user_sgpr_private_segment_size 0
		.amdhsa_wavefront_size32 1
		.amdhsa_uses_dynamic_stack 0
		.amdhsa_enable_private_segment 0
		.amdhsa_system_sgpr_workgroup_id_x 1
		.amdhsa_system_sgpr_workgroup_id_y 1
		.amdhsa_system_sgpr_workgroup_id_z 0
		.amdhsa_system_sgpr_workgroup_info 0
		.amdhsa_system_vgpr_workitem_id 1
		.amdhsa_next_free_vgpr 32
		.amdhsa_next_free_sgpr 32
		.amdhsa_named_barrier_count 0
		.amdhsa_reserve_vcc 1
		.amdhsa_float_round_mode_32 0
		.amdhsa_float_round_mode_16_64 0
		.amdhsa_float_denorm_mode_32 3
		.amdhsa_float_denorm_mode_16_64 3
		.amdhsa_fp16_overflow 0
		.amdhsa_memory_ordered 1
		.amdhsa_forward_progress 1
		.amdhsa_inst_pref_size 17
		.amdhsa_round_robin_scheduling 0
		.amdhsa_exception_fp_ieee_invalid_op 0
		.amdhsa_exception_fp_denorm_src 0
		.amdhsa_exception_fp_ieee_div_zero 0
		.amdhsa_exception_fp_ieee_overflow 0
		.amdhsa_exception_fp_ieee_underflow 0
		.amdhsa_exception_fp_ieee_inexact 0
		.amdhsa_exception_int_div_zero 0
	.end_amdhsa_kernel
	.section	.text._ZN9rocsparseL31bsrmm_large_blockdim_kernel_extILj8ELj8ELj2Eli21rocsparse_complex_numIfES2_S2_S2_EEvb20rocsparse_direction_T3_S4_llNS_24const_host_device_scalarIT7_EEPKT2_PKS4_PKT4_S4_PKT5_llS7_PT6_ll16rocsparse_order_21rocsparse_index_base_b,"axG",@progbits,_ZN9rocsparseL31bsrmm_large_blockdim_kernel_extILj8ELj8ELj2Eli21rocsparse_complex_numIfES2_S2_S2_EEvb20rocsparse_direction_T3_S4_llNS_24const_host_device_scalarIT7_EEPKT2_PKS4_PKT4_S4_PKT5_llS7_PT6_ll16rocsparse_order_21rocsparse_index_base_b,comdat
.Lfunc_end28:
	.size	_ZN9rocsparseL31bsrmm_large_blockdim_kernel_extILj8ELj8ELj2Eli21rocsparse_complex_numIfES2_S2_S2_EEvb20rocsparse_direction_T3_S4_llNS_24const_host_device_scalarIT7_EEPKT2_PKS4_PKT4_S4_PKT5_llS7_PT6_ll16rocsparse_order_21rocsparse_index_base_b, .Lfunc_end28-_ZN9rocsparseL31bsrmm_large_blockdim_kernel_extILj8ELj8ELj2Eli21rocsparse_complex_numIfES2_S2_S2_EEvb20rocsparse_direction_T3_S4_llNS_24const_host_device_scalarIT7_EEPKT2_PKS4_PKT4_S4_PKT5_llS7_PT6_ll16rocsparse_order_21rocsparse_index_base_b
                                        ; -- End function
	.set _ZN9rocsparseL31bsrmm_large_blockdim_kernel_extILj8ELj8ELj2Eli21rocsparse_complex_numIfES2_S2_S2_EEvb20rocsparse_direction_T3_S4_llNS_24const_host_device_scalarIT7_EEPKT2_PKS4_PKT4_S4_PKT5_llS7_PT6_ll16rocsparse_order_21rocsparse_index_base_b.num_vgpr, 32
	.set _ZN9rocsparseL31bsrmm_large_blockdim_kernel_extILj8ELj8ELj2Eli21rocsparse_complex_numIfES2_S2_S2_EEvb20rocsparse_direction_T3_S4_llNS_24const_host_device_scalarIT7_EEPKT2_PKS4_PKT4_S4_PKT5_llS7_PT6_ll16rocsparse_order_21rocsparse_index_base_b.num_agpr, 0
	.set _ZN9rocsparseL31bsrmm_large_blockdim_kernel_extILj8ELj8ELj2Eli21rocsparse_complex_numIfES2_S2_S2_EEvb20rocsparse_direction_T3_S4_llNS_24const_host_device_scalarIT7_EEPKT2_PKS4_PKT4_S4_PKT5_llS7_PT6_ll16rocsparse_order_21rocsparse_index_base_b.numbered_sgpr, 32
	.set _ZN9rocsparseL31bsrmm_large_blockdim_kernel_extILj8ELj8ELj2Eli21rocsparse_complex_numIfES2_S2_S2_EEvb20rocsparse_direction_T3_S4_llNS_24const_host_device_scalarIT7_EEPKT2_PKS4_PKT4_S4_PKT5_llS7_PT6_ll16rocsparse_order_21rocsparse_index_base_b.num_named_barrier, 0
	.set _ZN9rocsparseL31bsrmm_large_blockdim_kernel_extILj8ELj8ELj2Eli21rocsparse_complex_numIfES2_S2_S2_EEvb20rocsparse_direction_T3_S4_llNS_24const_host_device_scalarIT7_EEPKT2_PKS4_PKT4_S4_PKT5_llS7_PT6_ll16rocsparse_order_21rocsparse_index_base_b.private_seg_size, 0
	.set _ZN9rocsparseL31bsrmm_large_blockdim_kernel_extILj8ELj8ELj2Eli21rocsparse_complex_numIfES2_S2_S2_EEvb20rocsparse_direction_T3_S4_llNS_24const_host_device_scalarIT7_EEPKT2_PKS4_PKT4_S4_PKT5_llS7_PT6_ll16rocsparse_order_21rocsparse_index_base_b.uses_vcc, 1
	.set _ZN9rocsparseL31bsrmm_large_blockdim_kernel_extILj8ELj8ELj2Eli21rocsparse_complex_numIfES2_S2_S2_EEvb20rocsparse_direction_T3_S4_llNS_24const_host_device_scalarIT7_EEPKT2_PKS4_PKT4_S4_PKT5_llS7_PT6_ll16rocsparse_order_21rocsparse_index_base_b.uses_flat_scratch, 1
	.set _ZN9rocsparseL31bsrmm_large_blockdim_kernel_extILj8ELj8ELj2Eli21rocsparse_complex_numIfES2_S2_S2_EEvb20rocsparse_direction_T3_S4_llNS_24const_host_device_scalarIT7_EEPKT2_PKS4_PKT4_S4_PKT5_llS7_PT6_ll16rocsparse_order_21rocsparse_index_base_b.has_dyn_sized_stack, 0
	.set _ZN9rocsparseL31bsrmm_large_blockdim_kernel_extILj8ELj8ELj2Eli21rocsparse_complex_numIfES2_S2_S2_EEvb20rocsparse_direction_T3_S4_llNS_24const_host_device_scalarIT7_EEPKT2_PKS4_PKT4_S4_PKT5_llS7_PT6_ll16rocsparse_order_21rocsparse_index_base_b.has_recursion, 0
	.set _ZN9rocsparseL31bsrmm_large_blockdim_kernel_extILj8ELj8ELj2Eli21rocsparse_complex_numIfES2_S2_S2_EEvb20rocsparse_direction_T3_S4_llNS_24const_host_device_scalarIT7_EEPKT2_PKS4_PKT4_S4_PKT5_llS7_PT6_ll16rocsparse_order_21rocsparse_index_base_b.has_indirect_call, 0
	.section	.AMDGPU.csdata,"",@progbits
; Kernel info:
; codeLenInByte = 2076
; TotalNumSgprs: 34
; NumVgprs: 32
; ScratchSize: 0
; MemoryBound: 0
; FloatMode: 240
; IeeeMode: 1
; LDSByteSize: 1536 bytes/workgroup (compile time only)
; SGPRBlocks: 0
; VGPRBlocks: 1
; NumSGPRsForWavesPerEU: 34
; NumVGPRsForWavesPerEU: 32
; NamedBarCnt: 0
; Occupancy: 16
; WaveLimiterHint : 1
; COMPUTE_PGM_RSRC2:SCRATCH_EN: 0
; COMPUTE_PGM_RSRC2:USER_SGPR: 2
; COMPUTE_PGM_RSRC2:TRAP_HANDLER: 0
; COMPUTE_PGM_RSRC2:TGID_X_EN: 1
; COMPUTE_PGM_RSRC2:TGID_Y_EN: 1
; COMPUTE_PGM_RSRC2:TGID_Z_EN: 0
; COMPUTE_PGM_RSRC2:TIDIG_COMP_CNT: 1
	.section	.text._ZN9rocsparseL31bsrmm_large_blockdim_kernel_extILj4ELj16ELj2Eli21rocsparse_complex_numIfES2_S2_S2_EEvb20rocsparse_direction_T3_S4_llNS_24const_host_device_scalarIT7_EEPKT2_PKS4_PKT4_S4_PKT5_llS7_PT6_ll16rocsparse_order_21rocsparse_index_base_b,"axG",@progbits,_ZN9rocsparseL31bsrmm_large_blockdim_kernel_extILj4ELj16ELj2Eli21rocsparse_complex_numIfES2_S2_S2_EEvb20rocsparse_direction_T3_S4_llNS_24const_host_device_scalarIT7_EEPKT2_PKS4_PKT4_S4_PKT5_llS7_PT6_ll16rocsparse_order_21rocsparse_index_base_b,comdat
	.globl	_ZN9rocsparseL31bsrmm_large_blockdim_kernel_extILj4ELj16ELj2Eli21rocsparse_complex_numIfES2_S2_S2_EEvb20rocsparse_direction_T3_S4_llNS_24const_host_device_scalarIT7_EEPKT2_PKS4_PKT4_S4_PKT5_llS7_PT6_ll16rocsparse_order_21rocsparse_index_base_b ; -- Begin function _ZN9rocsparseL31bsrmm_large_blockdim_kernel_extILj4ELj16ELj2Eli21rocsparse_complex_numIfES2_S2_S2_EEvb20rocsparse_direction_T3_S4_llNS_24const_host_device_scalarIT7_EEPKT2_PKS4_PKT4_S4_PKT5_llS7_PT6_ll16rocsparse_order_21rocsparse_index_base_b
	.p2align	8
	.type	_ZN9rocsparseL31bsrmm_large_blockdim_kernel_extILj4ELj16ELj2Eli21rocsparse_complex_numIfES2_S2_S2_EEvb20rocsparse_direction_T3_S4_llNS_24const_host_device_scalarIT7_EEPKT2_PKS4_PKT4_S4_PKT5_llS7_PT6_ll16rocsparse_order_21rocsparse_index_base_b,@function
_ZN9rocsparseL31bsrmm_large_blockdim_kernel_extILj4ELj16ELj2Eli21rocsparse_complex_numIfES2_S2_S2_EEvb20rocsparse_direction_T3_S4_llNS_24const_host_device_scalarIT7_EEPKT2_PKS4_PKT4_S4_PKT5_llS7_PT6_ll16rocsparse_order_21rocsparse_index_base_b: ; @_ZN9rocsparseL31bsrmm_large_blockdim_kernel_extILj4ELj16ELj2Eli21rocsparse_complex_numIfES2_S2_S2_EEvb20rocsparse_direction_T3_S4_llNS_24const_host_device_scalarIT7_EEPKT2_PKS4_PKT4_S4_PKT5_llS7_PT6_ll16rocsparse_order_21rocsparse_index_base_b
; %bb.0:
	s_clause 0x2
	s_load_b96 s[20:22], s[0:1], 0x80
	s_load_b64 s[2:3], s[0:1], 0x20
	s_load_b64 s[4:5], s[0:1], 0x60
	v_mov_b32_e32 v1, 0
	s_add_nc_u64 s[6:7], s[0:1], 32
	s_add_nc_u64 s[8:9], s[0:1], 0x60
	s_wait_kmcnt 0x0
	s_bitcmp1_b32 s22, 0
	s_cselect_b32 s3, s7, s3
	s_cselect_b32 s2, s6, s2
	;; [unrolled: 1-line block ×4, first 2 shown]
	s_clause 0x1
	flat_load_b64 v[2:3], v1, s[2:3]
	flat_load_b64 v[4:5], v1, s[4:5]
	s_wait_loadcnt_dscnt 0x101
	v_cmp_eq_f32_e32 vcc_lo, 0, v2
	v_cmp_eq_f32_e64 s3, 0, v3
	s_wait_loadcnt_dscnt 0x0
	v_cmp_eq_f32_e64 s4, 1.0, v4
	v_cmp_eq_f32_e64 s2, 0, v5
	s_and_b32 s3, vcc_lo, s3
	s_and_b32 s4, s4, s2
	s_delay_alu instid0(SALU_CYCLE_1) | instskip(NEXT) | instid1(SALU_CYCLE_1)
	s_and_b32 s3, s3, s4
	s_xor_b32 s3, s3, -1
	s_delay_alu instid0(SALU_CYCLE_1)
	s_and_saveexec_b32 s4, s3
	s_cbranch_execz .LBB29_47
; %bb.1:
	s_clause 0x1
	s_load_b128 s[8:11], s[0:1], 0x0
	s_load_b64 s[4:5], s[0:1], 0x28
	s_bfe_u32 s3, ttmp6, 0x4000c
	s_and_b32 s6, ttmp6, 15
	s_add_co_i32 s3, s3, 1
	s_mov_b64 s[24:25], 0
	s_mul_i32 s7, ttmp9, s3
	s_getreg_b32 s3, hwreg(HW_REG_IB_STS2, 6, 4)
	s_add_co_i32 s6, s6, s7
	s_cmp_eq_u32 s3, 0
	s_mov_b64 s[26:27], 0
	s_cselect_b32 s22, ttmp9, s6
	s_wait_kmcnt 0x0
	s_cmp_lt_i32 s22, s10
	s_cselect_b32 s7, -1, 0
	s_cmp_ge_i32 s22, s10
	s_cbranch_scc1 .LBB29_3
; %bb.2:
	s_ashr_i32 s23, s22, 31
	s_mov_b32 s15, 0
	s_lshl_b64 s[12:13], s[22:23], 3
	s_mov_b32 s14, s21
	s_add_nc_u64 s[12:13], s[4:5], s[12:13]
	s_load_b64 s[12:13], s[12:13], 0x0
	s_wait_kmcnt 0x0
	s_sub_nc_u64 s[26:27], s[12:13], s[14:15]
.LBB29_3:
	s_and_not1_b32 vcc_lo, exec_lo, s7
	s_cbranch_vccnz .LBB29_5
; %bb.4:
	s_ashr_i32 s23, s22, 31
	s_delay_alu instid0(SALU_CYCLE_1) | instskip(NEXT) | instid1(SALU_CYCLE_1)
	s_lshl_b64 s[12:13], s[22:23], 3
	s_add_nc_u64 s[4:5], s[4:5], s[12:13]
	s_mov_b32 s13, 0
	s_load_b64 s[4:5], s[4:5], 0x8
	s_mov_b32 s12, s21
	s_wait_kmcnt 0x0
	s_sub_nc_u64 s[24:25], s[4:5], s[12:13]
.LBB29_5:
	s_bfe_u32 s4, ttmp6, 0x40010
	s_load_b32 s10, s[0:1], 0x40
	s_add_co_i32 s4, s4, 1
	s_bfe_u32 s5, ttmp6, 0x40004
	s_mul_i32 s4, ttmp7, s4
	v_bfe_u32 v6, v0, 10, 10
	s_add_co_i32 s5, s5, s4
	s_cmp_eq_u32 s3, 0
	v_and_b32_e32 v22, 0x3ff, v0
	s_cselect_b32 s3, ttmp7, s5
	s_mov_b32 s29, 0
	v_lshl_add_u32 v8, s3, 5, v6
	v_cmp_ge_i64_e64 s3, s[26:27], s[24:25]
	s_delay_alu instid0(VALU_DEP_2)
	v_add_nc_u32_e32 v0, 16, v8
	v_cmp_gt_i32_e64 s4, s11, v8
	s_and_b32 vcc_lo, exec_lo, s3
	s_wait_kmcnt 0x0
	v_cmp_gt_i32_e64 s3, s10, v22
	v_cmp_gt_i32_e64 s5, s11, v0
	s_cbranch_vccnz .LBB29_23
; %bb.6:
	s_clause 0x1
	s_load_b128 s[12:15], s[0:1], 0x30
	s_load_b128 s[16:19], s[0:1], 0x48
	v_mul_lo_u32 v10, s10, v6
	v_dual_mov_b32 v11, 0 :: v_dual_ashrrev_i32 v9, 31, v8
	v_dual_ashrrev_i32 v1, 31, v0 :: v_dual_lshlrev_b32 v18, 3, v6
	v_cmp_gt_i32_e32 vcc_lo, s10, v6
	s_delay_alu instid0(VALU_DEP_3) | instskip(SKIP_2) | instid1(VALU_DEP_1)
	v_dual_mov_b32 v21, v11 :: v_dual_lshlrev_b32 v20, 3, v22
	v_dual_mov_b32 v19, v11 :: v_dual_lshlrev_b32 v23, 5, v6
	s_mul_i32 s28, s10, s10
	v_add_nc_u32_e32 v26, v20, v23
	v_add_nc_u32_e32 v25, 0x200, v23
	s_wait_kmcnt 0x0
	v_lshl_add_u64 v[16:17], v[10:11], 3, s[14:15]
	v_mul_u64_e32 v[12:13], s[18:19], v[8:9]
	v_mul_u64_e32 v[14:15], s[18:19], v[0:1]
	v_mul_lo_u32 v10, s10, v22
	s_delay_alu instid0(VALU_DEP_4) | instskip(NEXT) | instid1(VALU_DEP_2)
	v_add_nc_u64_e32 v[6:7], v[16:17], v[20:21]
	v_lshl_add_u64 v[10:11], v[10:11], 3, s[14:15]
	s_and_b32 s14, s3, vcc_lo
	s_bitcmp1_b32 s8, 0
	s_cselect_b32 s6, -1, 0
	s_delay_alu instid0(VALU_DEP_1)
	v_add_nc_u64_e32 v[10:11], v[10:11], v[18:19]
	s_cmp_eq_u32 s9, 0
	v_add_nc_u32_e32 v18, 0x400, v18
	s_cselect_b32 vcc_lo, -1, 0
	s_delay_alu instid0(VALU_DEP_2) | instid1(SALU_CYCLE_1)
	v_dual_lshlrev_b32 v27, 5, v22 :: v_dual_cndmask_b32 v17, v7, v11, vcc_lo
	s_delay_alu instid0(VALU_DEP_3) | instskip(SKIP_2) | instid1(VALU_DEP_4)
	v_cndmask_b32_e32 v16, v6, v10, vcc_lo
	v_mov_b64_e32 v[10:11], 0
	v_mov_b64_e32 v[6:7], 0
	v_add_nc_u32_e32 v24, 0x400, v27
	v_add_nc_u32_e32 v27, v18, v27
	s_branch .LBB29_9
.LBB29_7:                               ;   in Loop: Header=BB29_9 Depth=1
	s_or_b32 exec_lo, exec_lo, s9
.LBB29_8:                               ;   in Loop: Header=BB29_9 Depth=1
	s_delay_alu instid0(SALU_CYCLE_1) | instskip(SKIP_1) | instid1(SALU_CYCLE_1)
	s_or_b32 exec_lo, exec_lo, s8
	s_add_nc_u64 s[26:27], s[26:27], 1
	v_cmp_ge_i64_e64 s8, s[26:27], s[24:25]
	s_barrier_signal -1
	s_barrier_wait -1
	s_and_b32 vcc_lo, exec_lo, s8
	s_cbranch_vccnz .LBB29_24
.LBB29_9:                               ; =>This Loop Header: Depth=1
                                        ;     Child Loop BB29_19 Depth 2
                                        ;     Child Loop BB29_22 Depth 2
	s_and_saveexec_b32 s8, s3
	s_cbranch_execz .LBB29_14
; %bb.10:                               ;   in Loop: Header=BB29_9 Depth=1
	s_lshl_b64 s[30:31], s[26:27], 2
	s_delay_alu instid0(SALU_CYCLE_1) | instskip(SKIP_3) | instid1(SALU_CYCLE_1)
	s_add_nc_u64 s[30:31], s[12:13], s[30:31]
	s_load_b32 s9, s[30:31], 0x0
	s_wait_kmcnt 0x0
	s_sub_co_i32 s9, s9, s21
	v_mad_u32 v20, s9, s10, v22
	s_delay_alu instid0(VALU_DEP_1) | instskip(NEXT) | instid1(VALU_DEP_1)
	v_ashrrev_i32_e32 v21, 31, v20
	v_mul_u64_e32 v[18:19], s[18:19], v[20:21]
	v_lshl_add_u64 v[20:21], v[20:21], 3, s[16:17]
	s_delay_alu instid0(VALU_DEP_2)
	v_lshl_add_u64 v[18:19], v[18:19], 3, s[16:17]
	s_and_saveexec_b32 s9, s4
	s_cbranch_execz .LBB29_12
; %bb.11:                               ;   in Loop: Header=BB29_9 Depth=1
	s_delay_alu instid0(VALU_DEP_1) | instskip(SKIP_1) | instid1(VALU_DEP_1)
	v_lshl_add_u64 v[28:29], v[8:9], 3, v[18:19]
	v_lshl_add_u64 v[30:31], v[12:13], 3, v[20:21]
	v_dual_cndmask_b32 v29, v29, v31, s6 :: v_dual_cndmask_b32 v28, v28, v30, s6
	global_load_b64 v[28:29], v[28:29], off
	s_wait_loadcnt 0x0
	ds_store_b64 v26, v[28:29]
.LBB29_12:                              ;   in Loop: Header=BB29_9 Depth=1
	s_or_b32 exec_lo, exec_lo, s9
	s_delay_alu instid0(SALU_CYCLE_1)
	s_and_b32 exec_lo, exec_lo, s5
	s_cbranch_execz .LBB29_14
; %bb.13:                               ;   in Loop: Header=BB29_9 Depth=1
	v_lshl_add_u64 v[20:21], v[14:15], 3, v[20:21]
	v_lshl_add_u64 v[18:19], v[0:1], 3, v[18:19]
	s_delay_alu instid0(VALU_DEP_1)
	v_dual_cndmask_b32 v19, v19, v21, s6 :: v_dual_cndmask_b32 v18, v18, v20, s6
	global_load_b64 v[18:19], v[18:19], off
	s_wait_loadcnt 0x0
	ds_store_b64 v26, v[18:19] offset:512
.LBB29_14:                              ;   in Loop: Header=BB29_9 Depth=1
	s_or_b32 exec_lo, exec_lo, s8
	s_and_saveexec_b32 s8, s14
	s_cbranch_execz .LBB29_16
; %bb.15:                               ;   in Loop: Header=BB29_9 Depth=1
	s_mul_u64 s[30:31], s[26:27], s[28:29]
	s_delay_alu instid0(SALU_CYCLE_1)
	v_lshl_add_u64 v[18:19], s[30:31], 3, v[16:17]
	global_load_b64 v[18:19], v[18:19], off
	s_wait_loadcnt 0x0
	ds_store_b64 v27, v[18:19]
.LBB29_16:                              ;   in Loop: Header=BB29_9 Depth=1
	s_or_b32 exec_lo, exec_lo, s8
	s_wait_dscnt 0x0
	s_barrier_signal -1
	s_barrier_wait -1
	s_and_saveexec_b32 s8, s3
	s_cbranch_execz .LBB29_8
; %bb.17:                               ;   in Loop: Header=BB29_9 Depth=1
	s_and_saveexec_b32 s9, s4
	s_cbranch_execz .LBB29_20
; %bb.18:                               ;   in Loop: Header=BB29_9 Depth=1
	v_dual_mov_b32 v18, v24 :: v_dual_mov_b32 v19, v23
	s_mov_b32 s15, s10
.LBB29_19:                              ;   Parent Loop BB29_9 Depth=1
                                        ; =>  This Inner Loop Header: Depth=2
	ds_load_b64 v[20:21], v19
	ds_load_b64 v[28:29], v18
	v_dual_add_nc_u32 v19, 8, v19 :: v_dual_add_nc_u32 v18, 8, v18
	s_add_co_i32 s15, s15, -1
	s_delay_alu instid0(SALU_CYCLE_1) | instskip(SKIP_2) | instid1(VALU_DEP_1)
	s_cmp_lg_u32 s15, 0
	s_wait_dscnt 0x0
	v_pk_fma_f32 v[10:11], v[28:29], v[20:21], v[10:11] op_sel_hi:[1,0,1]
	v_pk_fma_f32 v[10:11], v[28:29], v[20:21], v[10:11] op_sel:[1,1,0] op_sel_hi:[0,1,1] neg_lo:[1,0,0]
	s_cbranch_scc1 .LBB29_19
.LBB29_20:                              ;   in Loop: Header=BB29_9 Depth=1
	s_or_b32 exec_lo, exec_lo, s9
	s_and_saveexec_b32 s9, s5
	s_cbranch_execz .LBB29_7
; %bb.21:                               ;   in Loop: Header=BB29_9 Depth=1
	v_dual_mov_b32 v18, v24 :: v_dual_mov_b32 v19, v25
	s_mov_b32 s15, s10
.LBB29_22:                              ;   Parent Loop BB29_9 Depth=1
                                        ; =>  This Inner Loop Header: Depth=2
	ds_load_b64 v[20:21], v19
	ds_load_b64 v[28:29], v18
	v_dual_add_nc_u32 v19, 8, v19 :: v_dual_add_nc_u32 v18, 8, v18
	s_add_co_i32 s15, s15, -1
	s_delay_alu instid0(SALU_CYCLE_1) | instskip(SKIP_2) | instid1(VALU_DEP_1)
	s_cmp_lg_u32 s15, 0
	s_wait_dscnt 0x0
	v_pk_fma_f32 v[6:7], v[28:29], v[20:21], v[6:7] op_sel_hi:[1,0,1]
	v_pk_fma_f32 v[6:7], v[28:29], v[20:21], v[6:7] op_sel:[1,1,0] op_sel_hi:[0,1,1] neg_lo:[1,0,0]
	s_cbranch_scc1 .LBB29_22
	s_branch .LBB29_7
.LBB29_23:
	v_mov_b64_e32 v[6:7], 0
	v_mov_b64_e32 v[10:11], 0
.LBB29_24:
	s_load_b64 s[4:5], s[0:1], 0x68
	s_and_b32 s3, s7, s3
	s_delay_alu instid0(SALU_CYCLE_1)
	s_and_b32 exec_lo, exec_lo, s3
	s_cbranch_execz .LBB29_47
; %bb.25:
	s_wait_xcnt 0x0
	s_load_b64 s[0:1], s[0:1], 0x70
	v_mad_u32 v12, s10, s22, v22
	v_cmp_neq_f32_e32 vcc_lo, 0, v4
	s_xor_b32 s2, s2, -1
	s_delay_alu instid0(SALU_CYCLE_1) | instskip(SKIP_2) | instid1(VALU_DEP_2)
	s_or_b32 s2, vcc_lo, s2
	s_cmp_lg_u32 s20, 1
	s_cselect_b32 s3, -1, 0
	v_ashrrev_i32_e32 v13, 31, v12
	s_wait_kmcnt 0x0
	s_delay_alu instid0(VALU_DEP_1) | instskip(SKIP_1) | instid1(VALU_DEP_2)
	v_mul_u64_e32 v[14:15], s[0:1], v[12:13]
	v_lshl_add_u64 v[12:13], v[12:13], 3, s[4:5]
	v_lshl_add_u64 v[14:15], v[14:15], 3, s[4:5]
	s_mov_b32 s4, exec_lo
	v_cmpx_gt_i32_e64 s11, v8
	s_cbranch_execz .LBB29_36
; %bb.26:
	v_ashrrev_i32_e32 v9, 31, v8
	s_and_saveexec_b32 s5, s2
	s_delay_alu instid0(SALU_CYCLE_1)
	s_xor_b32 s5, exec_lo, s5
	s_cbranch_execz .LBB29_31
; %bb.27:
	s_and_b32 vcc_lo, exec_lo, s3
	s_mov_b32 s6, -1
	s_cbranch_vccz .LBB29_29
; %bb.28:
	v_lshl_add_u64 v[16:17], v[8:9], 3, v[14:15]
	v_xor_b32_e32 v20, 0x80000000, v3
	v_dual_mov_b32 v21, v2 :: v_dual_mov_b32 v23, v4
	v_xor_b32_e32 v22, 0x80000000, v5
	global_load_b64 v[18:19], v[16:17], off
	s_mov_b32 s6, 0
	v_pk_mul_f32 v[20:21], v[10:11], v[20:21] op_sel:[1,0]
	s_delay_alu instid0(VALU_DEP_1) | instskip(SKIP_1) | instid1(VALU_DEP_1)
	v_pk_fma_f32 v[20:21], v[2:3], v[10:11], v[20:21] op_sel_hi:[1,0,1]
	s_wait_loadcnt 0x0
	v_pk_fma_f32 v[20:21], v[4:5], v[18:19], v[20:21] op_sel_hi:[1,0,1]
	s_delay_alu instid0(VALU_DEP_1)
	v_pk_fma_f32 v[18:19], v[22:23], v[18:19], v[20:21] op_sel:[0,1,0]
	global_store_b64 v[16:17], v[18:19], off
.LBB29_29:
	s_and_not1_b32 vcc_lo, exec_lo, s6
	s_cbranch_vccnz .LBB29_31
; %bb.30:
	v_mul_u64_e32 v[8:9], s[0:1], v[8:9]
	s_wait_xcnt 0x0
	v_xor_b32_e32 v18, 0x80000000, v3
	v_mov_b32_e32 v19, v2
	s_delay_alu instid0(VALU_DEP_1) | instskip(NEXT) | instid1(VALU_DEP_1)
	v_pk_mul_f32 v[18:19], v[10:11], v[18:19] op_sel:[1,0]
	v_pk_fma_f32 v[10:11], v[2:3], v[10:11], v[18:19] op_sel_hi:[1,0,1]
	v_xor_b32_e32 v18, 0x80000000, v5
	v_mov_b32_e32 v19, v4
	v_lshl_add_u64 v[8:9], v[8:9], 3, v[12:13]
	global_load_b64 v[16:17], v[8:9], off
	s_wait_loadcnt 0x0
	v_pk_fma_f32 v[10:11], v[4:5], v[16:17], v[10:11] op_sel_hi:[1,0,1]
	s_delay_alu instid0(VALU_DEP_1)
	v_pk_fma_f32 v[10:11], v[18:19], v[16:17], v[10:11] op_sel:[0,1,0]
	global_store_b64 v[8:9], v[10:11], off
                                        ; implicit-def: $vgpr10_vgpr11
                                        ; implicit-def: $vgpr8
.LBB29_31:
	s_wait_xcnt 0x0
	s_and_not1_saveexec_b32 s5, s5
	s_cbranch_execz .LBB29_36
; %bb.32:
	v_xor_b32_e32 v16, 0x80000000, v3
	v_mov_b32_e32 v17, v2
	s_and_b32 vcc_lo, exec_lo, s3
	s_mov_b32 s5, -1
	s_delay_alu instid0(VALU_DEP_1) | instskip(NEXT) | instid1(VALU_DEP_1)
	v_pk_mul_f32 v[16:17], v[10:11], v[16:17] op_sel:[1,0]
	v_pk_fma_f32 v[10:11], v[2:3], v[10:11], v[16:17] op_sel_hi:[1,0,1]
	s_cbranch_vccz .LBB29_34
; %bb.33:
	v_lshl_add_u64 v[16:17], v[8:9], 3, v[14:15]
	s_mov_b32 s5, 0
	global_store_b64 v[16:17], v[10:11], off
.LBB29_34:
	s_and_not1_b32 vcc_lo, exec_lo, s5
	s_cbranch_vccnz .LBB29_36
; %bb.35:
	v_mul_u64_e32 v[8:9], s[0:1], v[8:9]
	s_delay_alu instid0(VALU_DEP_1)
	v_lshl_add_u64 v[8:9], v[8:9], 3, v[12:13]
	global_store_b64 v[8:9], v[10:11], off
.LBB29_36:
	s_wait_xcnt 0x0
	s_or_b32 exec_lo, exec_lo, s4
	v_cmp_gt_i32_e32 vcc_lo, s11, v0
	s_and_b32 exec_lo, exec_lo, vcc_lo
	s_cbranch_execz .LBB29_47
; %bb.37:
	v_ashrrev_i32_e32 v1, 31, v0
	v_cndmask_b32_e64 v9, 0, 1, s3
	s_and_saveexec_b32 s3, s2
	s_delay_alu instid0(SALU_CYCLE_1)
	s_xor_b32 s2, exec_lo, s3
	s_cbranch_execz .LBB29_42
; %bb.38:
	s_delay_alu instid0(VALU_DEP_1)
	v_cmp_ne_u32_e32 vcc_lo, 1, v9
	v_xor_b32_e32 v8, 0x80000000, v5
	s_mov_b32 s3, -1
	s_cbranch_vccnz .LBB29_40
; %bb.39:
	v_lshl_add_u64 v[10:11], v[0:1], 3, v[14:15]
	v_xor_b32_e32 v16, 0x80000000, v3
	v_dual_mov_b32 v17, v2 :: v_dual_mov_b32 v9, v4
	s_mov_b32 s3, 0
	global_load_b64 v[14:15], v[10:11], off
	v_pk_mul_f32 v[16:17], v[6:7], v[16:17] op_sel:[1,0]
	s_delay_alu instid0(VALU_DEP_1) | instskip(SKIP_1) | instid1(VALU_DEP_1)
	v_pk_fma_f32 v[16:17], v[2:3], v[6:7], v[16:17] op_sel_hi:[1,0,1]
	s_wait_loadcnt 0x0
	v_pk_fma_f32 v[16:17], v[4:5], v[14:15], v[16:17] op_sel_hi:[1,0,1]
	s_delay_alu instid0(VALU_DEP_1)
	v_pk_fma_f32 v[14:15], v[8:9], v[14:15], v[16:17] op_sel:[0,1,0]
	global_store_b64 v[10:11], v[14:15], off
.LBB29_40:
	s_and_not1_b32 vcc_lo, exec_lo, s3
                                        ; implicit-def: $vgpr9
                                        ; implicit-def: $vgpr14_vgpr15
	s_cbranch_vccnz .LBB29_42
; %bb.41:
	v_mul_u64_e32 v[0:1], s[0:1], v[0:1]
                                        ; implicit-def: $vgpr14_vgpr15
	v_mov_b32_e32 v9, v4
	s_delay_alu instid0(VALU_DEP_2) | instskip(SKIP_4) | instid1(VALU_DEP_1)
	v_lshl_add_u64 v[0:1], v[0:1], 3, v[12:13]
	v_xor_b32_e32 v12, 0x80000000, v3
	v_mov_b32_e32 v13, v2
	global_load_b64 v[10:11], v[0:1], off
	v_pk_mul_f32 v[12:13], v[6:7], v[12:13] op_sel:[1,0]
	v_pk_fma_f32 v[2:3], v[2:3], v[6:7], v[12:13] op_sel_hi:[1,0,1]
                                        ; implicit-def: $vgpr12_vgpr13
                                        ; implicit-def: $vgpr6_vgpr7
	s_wait_loadcnt 0x0
	s_delay_alu instid0(VALU_DEP_1) | instskip(NEXT) | instid1(VALU_DEP_1)
	v_pk_fma_f32 v[2:3], v[4:5], v[10:11], v[2:3] op_sel_hi:[1,0,1]
	v_pk_fma_f32 v[2:3], v[8:9], v[10:11], v[2:3] op_sel:[0,1,0]
                                        ; implicit-def: $vgpr9
	global_store_b64 v[0:1], v[2:3], off
                                        ; implicit-def: $vgpr2_vgpr3
                                        ; implicit-def: $vgpr0
.LBB29_42:
	s_wait_xcnt 0x0
	s_and_not1_saveexec_b32 s2, s2
	s_cbranch_execz .LBB29_47
; %bb.43:
	v_xor_b32_e32 v4, 0x80000000, v3
	v_mov_b32_e32 v5, v2
	v_cmp_ne_u32_e32 vcc_lo, 1, v9
	s_mov_b32 s2, -1
	s_delay_alu instid0(VALU_DEP_2) | instskip(NEXT) | instid1(VALU_DEP_1)
	v_pk_mul_f32 v[4:5], v[6:7], v[4:5] op_sel:[1,0]
	v_pk_fma_f32 v[2:3], v[2:3], v[6:7], v[4:5] op_sel_hi:[1,0,1]
	s_cbranch_vccnz .LBB29_45
; %bb.44:
	v_lshl_add_u64 v[4:5], v[0:1], 3, v[14:15]
	s_mov_b32 s2, 0
	global_store_b64 v[4:5], v[2:3], off
.LBB29_45:
	s_and_not1_b32 vcc_lo, exec_lo, s2
	s_cbranch_vccnz .LBB29_47
; %bb.46:
	v_mul_u64_e32 v[0:1], s[0:1], v[0:1]
	s_delay_alu instid0(VALU_DEP_1)
	v_lshl_add_u64 v[0:1], v[0:1], 3, v[12:13]
	global_store_b64 v[0:1], v[2:3], off
.LBB29_47:
	s_endpgm
	.section	.rodata,"a",@progbits
	.p2align	6, 0x0
	.amdhsa_kernel _ZN9rocsparseL31bsrmm_large_blockdim_kernel_extILj4ELj16ELj2Eli21rocsparse_complex_numIfES2_S2_S2_EEvb20rocsparse_direction_T3_S4_llNS_24const_host_device_scalarIT7_EEPKT2_PKS4_PKT4_S4_PKT5_llS7_PT6_ll16rocsparse_order_21rocsparse_index_base_b
		.amdhsa_group_segment_fixed_size 1152
		.amdhsa_private_segment_fixed_size 0
		.amdhsa_kernarg_size 140
		.amdhsa_user_sgpr_count 2
		.amdhsa_user_sgpr_dispatch_ptr 0
		.amdhsa_user_sgpr_queue_ptr 0
		.amdhsa_user_sgpr_kernarg_segment_ptr 1
		.amdhsa_user_sgpr_dispatch_id 0
		.amdhsa_user_sgpr_kernarg_preload_length 0
		.amdhsa_user_sgpr_kernarg_preload_offset 0
		.amdhsa_user_sgpr_private_segment_size 0
		.amdhsa_wavefront_size32 1
		.amdhsa_uses_dynamic_stack 0
		.amdhsa_enable_private_segment 0
		.amdhsa_system_sgpr_workgroup_id_x 1
		.amdhsa_system_sgpr_workgroup_id_y 1
		.amdhsa_system_sgpr_workgroup_id_z 0
		.amdhsa_system_sgpr_workgroup_info 0
		.amdhsa_system_vgpr_workitem_id 1
		.amdhsa_next_free_vgpr 32
		.amdhsa_next_free_sgpr 32
		.amdhsa_named_barrier_count 0
		.amdhsa_reserve_vcc 1
		.amdhsa_float_round_mode_32 0
		.amdhsa_float_round_mode_16_64 0
		.amdhsa_float_denorm_mode_32 3
		.amdhsa_float_denorm_mode_16_64 3
		.amdhsa_fp16_overflow 0
		.amdhsa_memory_ordered 1
		.amdhsa_forward_progress 1
		.amdhsa_inst_pref_size 17
		.amdhsa_round_robin_scheduling 0
		.amdhsa_exception_fp_ieee_invalid_op 0
		.amdhsa_exception_fp_denorm_src 0
		.amdhsa_exception_fp_ieee_div_zero 0
		.amdhsa_exception_fp_ieee_overflow 0
		.amdhsa_exception_fp_ieee_underflow 0
		.amdhsa_exception_fp_ieee_inexact 0
		.amdhsa_exception_int_div_zero 0
	.end_amdhsa_kernel
	.section	.text._ZN9rocsparseL31bsrmm_large_blockdim_kernel_extILj4ELj16ELj2Eli21rocsparse_complex_numIfES2_S2_S2_EEvb20rocsparse_direction_T3_S4_llNS_24const_host_device_scalarIT7_EEPKT2_PKS4_PKT4_S4_PKT5_llS7_PT6_ll16rocsparse_order_21rocsparse_index_base_b,"axG",@progbits,_ZN9rocsparseL31bsrmm_large_blockdim_kernel_extILj4ELj16ELj2Eli21rocsparse_complex_numIfES2_S2_S2_EEvb20rocsparse_direction_T3_S4_llNS_24const_host_device_scalarIT7_EEPKT2_PKS4_PKT4_S4_PKT5_llS7_PT6_ll16rocsparse_order_21rocsparse_index_base_b,comdat
.Lfunc_end29:
	.size	_ZN9rocsparseL31bsrmm_large_blockdim_kernel_extILj4ELj16ELj2Eli21rocsparse_complex_numIfES2_S2_S2_EEvb20rocsparse_direction_T3_S4_llNS_24const_host_device_scalarIT7_EEPKT2_PKS4_PKT4_S4_PKT5_llS7_PT6_ll16rocsparse_order_21rocsparse_index_base_b, .Lfunc_end29-_ZN9rocsparseL31bsrmm_large_blockdim_kernel_extILj4ELj16ELj2Eli21rocsparse_complex_numIfES2_S2_S2_EEvb20rocsparse_direction_T3_S4_llNS_24const_host_device_scalarIT7_EEPKT2_PKS4_PKT4_S4_PKT5_llS7_PT6_ll16rocsparse_order_21rocsparse_index_base_b
                                        ; -- End function
	.set _ZN9rocsparseL31bsrmm_large_blockdim_kernel_extILj4ELj16ELj2Eli21rocsparse_complex_numIfES2_S2_S2_EEvb20rocsparse_direction_T3_S4_llNS_24const_host_device_scalarIT7_EEPKT2_PKS4_PKT4_S4_PKT5_llS7_PT6_ll16rocsparse_order_21rocsparse_index_base_b.num_vgpr, 32
	.set _ZN9rocsparseL31bsrmm_large_blockdim_kernel_extILj4ELj16ELj2Eli21rocsparse_complex_numIfES2_S2_S2_EEvb20rocsparse_direction_T3_S4_llNS_24const_host_device_scalarIT7_EEPKT2_PKS4_PKT4_S4_PKT5_llS7_PT6_ll16rocsparse_order_21rocsparse_index_base_b.num_agpr, 0
	.set _ZN9rocsparseL31bsrmm_large_blockdim_kernel_extILj4ELj16ELj2Eli21rocsparse_complex_numIfES2_S2_S2_EEvb20rocsparse_direction_T3_S4_llNS_24const_host_device_scalarIT7_EEPKT2_PKS4_PKT4_S4_PKT5_llS7_PT6_ll16rocsparse_order_21rocsparse_index_base_b.numbered_sgpr, 32
	.set _ZN9rocsparseL31bsrmm_large_blockdim_kernel_extILj4ELj16ELj2Eli21rocsparse_complex_numIfES2_S2_S2_EEvb20rocsparse_direction_T3_S4_llNS_24const_host_device_scalarIT7_EEPKT2_PKS4_PKT4_S4_PKT5_llS7_PT6_ll16rocsparse_order_21rocsparse_index_base_b.num_named_barrier, 0
	.set _ZN9rocsparseL31bsrmm_large_blockdim_kernel_extILj4ELj16ELj2Eli21rocsparse_complex_numIfES2_S2_S2_EEvb20rocsparse_direction_T3_S4_llNS_24const_host_device_scalarIT7_EEPKT2_PKS4_PKT4_S4_PKT5_llS7_PT6_ll16rocsparse_order_21rocsparse_index_base_b.private_seg_size, 0
	.set _ZN9rocsparseL31bsrmm_large_blockdim_kernel_extILj4ELj16ELj2Eli21rocsparse_complex_numIfES2_S2_S2_EEvb20rocsparse_direction_T3_S4_llNS_24const_host_device_scalarIT7_EEPKT2_PKS4_PKT4_S4_PKT5_llS7_PT6_ll16rocsparse_order_21rocsparse_index_base_b.uses_vcc, 1
	.set _ZN9rocsparseL31bsrmm_large_blockdim_kernel_extILj4ELj16ELj2Eli21rocsparse_complex_numIfES2_S2_S2_EEvb20rocsparse_direction_T3_S4_llNS_24const_host_device_scalarIT7_EEPKT2_PKS4_PKT4_S4_PKT5_llS7_PT6_ll16rocsparse_order_21rocsparse_index_base_b.uses_flat_scratch, 1
	.set _ZN9rocsparseL31bsrmm_large_blockdim_kernel_extILj4ELj16ELj2Eli21rocsparse_complex_numIfES2_S2_S2_EEvb20rocsparse_direction_T3_S4_llNS_24const_host_device_scalarIT7_EEPKT2_PKS4_PKT4_S4_PKT5_llS7_PT6_ll16rocsparse_order_21rocsparse_index_base_b.has_dyn_sized_stack, 0
	.set _ZN9rocsparseL31bsrmm_large_blockdim_kernel_extILj4ELj16ELj2Eli21rocsparse_complex_numIfES2_S2_S2_EEvb20rocsparse_direction_T3_S4_llNS_24const_host_device_scalarIT7_EEPKT2_PKS4_PKT4_S4_PKT5_llS7_PT6_ll16rocsparse_order_21rocsparse_index_base_b.has_recursion, 0
	.set _ZN9rocsparseL31bsrmm_large_blockdim_kernel_extILj4ELj16ELj2Eli21rocsparse_complex_numIfES2_S2_S2_EEvb20rocsparse_direction_T3_S4_llNS_24const_host_device_scalarIT7_EEPKT2_PKS4_PKT4_S4_PKT5_llS7_PT6_ll16rocsparse_order_21rocsparse_index_base_b.has_indirect_call, 0
	.section	.AMDGPU.csdata,"",@progbits
; Kernel info:
; codeLenInByte = 2076
; TotalNumSgprs: 34
; NumVgprs: 32
; ScratchSize: 0
; MemoryBound: 0
; FloatMode: 240
; IeeeMode: 1
; LDSByteSize: 1152 bytes/workgroup (compile time only)
; SGPRBlocks: 0
; VGPRBlocks: 1
; NumSGPRsForWavesPerEU: 34
; NumVGPRsForWavesPerEU: 32
; NamedBarCnt: 0
; Occupancy: 16
; WaveLimiterHint : 1
; COMPUTE_PGM_RSRC2:SCRATCH_EN: 0
; COMPUTE_PGM_RSRC2:USER_SGPR: 2
; COMPUTE_PGM_RSRC2:TRAP_HANDLER: 0
; COMPUTE_PGM_RSRC2:TGID_X_EN: 1
; COMPUTE_PGM_RSRC2:TGID_Y_EN: 1
; COMPUTE_PGM_RSRC2:TGID_Z_EN: 0
; COMPUTE_PGM_RSRC2:TIDIG_COMP_CNT: 1
	.section	.text._ZN9rocsparseL31bsrmm_large_blockdim_kernel_extILj16ELj16ELj2Eli21rocsparse_complex_numIfES2_S2_S2_EEvb20rocsparse_direction_T3_S4_llNS_24const_host_device_scalarIT7_EEPKT2_PKS4_PKT4_S4_PKT5_llS7_PT6_ll16rocsparse_order_21rocsparse_index_base_b,"axG",@progbits,_ZN9rocsparseL31bsrmm_large_blockdim_kernel_extILj16ELj16ELj2Eli21rocsparse_complex_numIfES2_S2_S2_EEvb20rocsparse_direction_T3_S4_llNS_24const_host_device_scalarIT7_EEPKT2_PKS4_PKT4_S4_PKT5_llS7_PT6_ll16rocsparse_order_21rocsparse_index_base_b,comdat
	.globl	_ZN9rocsparseL31bsrmm_large_blockdim_kernel_extILj16ELj16ELj2Eli21rocsparse_complex_numIfES2_S2_S2_EEvb20rocsparse_direction_T3_S4_llNS_24const_host_device_scalarIT7_EEPKT2_PKS4_PKT4_S4_PKT5_llS7_PT6_ll16rocsparse_order_21rocsparse_index_base_b ; -- Begin function _ZN9rocsparseL31bsrmm_large_blockdim_kernel_extILj16ELj16ELj2Eli21rocsparse_complex_numIfES2_S2_S2_EEvb20rocsparse_direction_T3_S4_llNS_24const_host_device_scalarIT7_EEPKT2_PKS4_PKT4_S4_PKT5_llS7_PT6_ll16rocsparse_order_21rocsparse_index_base_b
	.p2align	8
	.type	_ZN9rocsparseL31bsrmm_large_blockdim_kernel_extILj16ELj16ELj2Eli21rocsparse_complex_numIfES2_S2_S2_EEvb20rocsparse_direction_T3_S4_llNS_24const_host_device_scalarIT7_EEPKT2_PKS4_PKT4_S4_PKT5_llS7_PT6_ll16rocsparse_order_21rocsparse_index_base_b,@function
_ZN9rocsparseL31bsrmm_large_blockdim_kernel_extILj16ELj16ELj2Eli21rocsparse_complex_numIfES2_S2_S2_EEvb20rocsparse_direction_T3_S4_llNS_24const_host_device_scalarIT7_EEPKT2_PKS4_PKT4_S4_PKT5_llS7_PT6_ll16rocsparse_order_21rocsparse_index_base_b: ; @_ZN9rocsparseL31bsrmm_large_blockdim_kernel_extILj16ELj16ELj2Eli21rocsparse_complex_numIfES2_S2_S2_EEvb20rocsparse_direction_T3_S4_llNS_24const_host_device_scalarIT7_EEPKT2_PKS4_PKT4_S4_PKT5_llS7_PT6_ll16rocsparse_order_21rocsparse_index_base_b
; %bb.0:
	s_clause 0x2
	s_load_b96 s[20:22], s[0:1], 0x80
	s_load_b64 s[2:3], s[0:1], 0x20
	s_load_b64 s[4:5], s[0:1], 0x60
	v_mov_b32_e32 v1, 0
	s_add_nc_u64 s[6:7], s[0:1], 32
	s_add_nc_u64 s[8:9], s[0:1], 0x60
	s_wait_kmcnt 0x0
	s_bitcmp1_b32 s22, 0
	s_cselect_b32 s3, s7, s3
	s_cselect_b32 s2, s6, s2
	s_cselect_b32 s5, s9, s5
	s_cselect_b32 s4, s8, s4
	s_clause 0x1
	flat_load_b64 v[2:3], v1, s[2:3]
	flat_load_b64 v[4:5], v1, s[4:5]
	s_wait_loadcnt_dscnt 0x101
	v_cmp_eq_f32_e32 vcc_lo, 0, v2
	v_cmp_eq_f32_e64 s3, 0, v3
	s_wait_loadcnt_dscnt 0x0
	v_cmp_eq_f32_e64 s4, 1.0, v4
	v_cmp_eq_f32_e64 s2, 0, v5
	s_and_b32 s3, vcc_lo, s3
	s_and_b32 s4, s4, s2
	s_delay_alu instid0(SALU_CYCLE_1) | instskip(NEXT) | instid1(SALU_CYCLE_1)
	s_and_b32 s3, s3, s4
	s_xor_b32 s3, s3, -1
	s_delay_alu instid0(SALU_CYCLE_1)
	s_and_saveexec_b32 s4, s3
	s_cbranch_execz .LBB30_47
; %bb.1:
	s_clause 0x1
	s_load_b128 s[8:11], s[0:1], 0x0
	s_load_b64 s[4:5], s[0:1], 0x28
	s_bfe_u32 s3, ttmp6, 0x4000c
	s_and_b32 s6, ttmp6, 15
	s_add_co_i32 s3, s3, 1
	s_mov_b64 s[24:25], 0
	s_mul_i32 s7, ttmp9, s3
	s_getreg_b32 s3, hwreg(HW_REG_IB_STS2, 6, 4)
	s_add_co_i32 s6, s6, s7
	s_cmp_eq_u32 s3, 0
	s_mov_b64 s[26:27], 0
	s_cselect_b32 s22, ttmp9, s6
	s_wait_kmcnt 0x0
	s_cmp_lt_i32 s22, s10
	s_cselect_b32 s7, -1, 0
	s_cmp_ge_i32 s22, s10
	s_cbranch_scc1 .LBB30_3
; %bb.2:
	s_ashr_i32 s23, s22, 31
	s_mov_b32 s15, 0
	s_lshl_b64 s[12:13], s[22:23], 3
	s_mov_b32 s14, s21
	s_add_nc_u64 s[12:13], s[4:5], s[12:13]
	s_load_b64 s[12:13], s[12:13], 0x0
	s_wait_kmcnt 0x0
	s_sub_nc_u64 s[26:27], s[12:13], s[14:15]
.LBB30_3:
	s_and_not1_b32 vcc_lo, exec_lo, s7
	s_cbranch_vccnz .LBB30_5
; %bb.4:
	s_ashr_i32 s23, s22, 31
	s_delay_alu instid0(SALU_CYCLE_1) | instskip(NEXT) | instid1(SALU_CYCLE_1)
	s_lshl_b64 s[12:13], s[22:23], 3
	s_add_nc_u64 s[4:5], s[4:5], s[12:13]
	s_mov_b32 s13, 0
	s_load_b64 s[4:5], s[4:5], 0x8
	s_mov_b32 s12, s21
	s_wait_kmcnt 0x0
	s_sub_nc_u64 s[24:25], s[4:5], s[12:13]
.LBB30_5:
	s_bfe_u32 s4, ttmp6, 0x40010
	s_load_b32 s10, s[0:1], 0x40
	s_add_co_i32 s4, s4, 1
	s_bfe_u32 s5, ttmp6, 0x40004
	s_mul_i32 s4, ttmp7, s4
	v_bfe_u32 v6, v0, 10, 10
	s_add_co_i32 s5, s5, s4
	s_cmp_eq_u32 s3, 0
	v_and_b32_e32 v22, 0x3ff, v0
	s_cselect_b32 s3, ttmp7, s5
	s_mov_b32 s29, 0
	v_lshl_add_u32 v8, s3, 5, v6
	v_cmp_ge_i64_e64 s3, s[26:27], s[24:25]
	s_delay_alu instid0(VALU_DEP_2)
	v_add_nc_u32_e32 v0, 16, v8
	v_cmp_gt_i32_e64 s4, s11, v8
	s_and_b32 vcc_lo, exec_lo, s3
	s_wait_kmcnt 0x0
	v_cmp_gt_i32_e64 s3, s10, v22
	v_cmp_gt_i32_e64 s5, s11, v0
	s_cbranch_vccnz .LBB30_23
; %bb.6:
	s_clause 0x1
	s_load_b128 s[12:15], s[0:1], 0x30
	s_load_b128 s[16:19], s[0:1], 0x48
	v_mul_lo_u32 v10, s10, v6
	v_dual_mov_b32 v11, 0 :: v_dual_ashrrev_i32 v9, 31, v8
	v_dual_ashrrev_i32 v1, 31, v0 :: v_dual_lshlrev_b32 v18, 3, v6
	v_cmp_gt_i32_e32 vcc_lo, s10, v6
	s_delay_alu instid0(VALU_DEP_3) | instskip(SKIP_2) | instid1(VALU_DEP_1)
	v_dual_mov_b32 v21, v11 :: v_dual_lshlrev_b32 v20, 3, v22
	v_dual_mov_b32 v19, v11 :: v_dual_lshlrev_b32 v23, 7, v6
	s_mul_i32 s28, s10, s10
	v_add_nc_u32_e32 v26, v20, v23
	v_add_nc_u32_e32 v25, 0x800, v23
	s_wait_kmcnt 0x0
	v_lshl_add_u64 v[16:17], v[10:11], 3, s[14:15]
	v_mul_u64_e32 v[12:13], s[18:19], v[8:9]
	v_mul_u64_e32 v[14:15], s[18:19], v[0:1]
	v_mul_lo_u32 v10, s10, v22
	s_delay_alu instid0(VALU_DEP_4) | instskip(NEXT) | instid1(VALU_DEP_2)
	v_add_nc_u64_e32 v[6:7], v[16:17], v[20:21]
	v_lshl_add_u64 v[10:11], v[10:11], 3, s[14:15]
	s_and_b32 s14, s3, vcc_lo
	s_bitcmp1_b32 s8, 0
	s_cselect_b32 s6, -1, 0
	s_delay_alu instid0(VALU_DEP_1)
	v_add_nc_u64_e32 v[10:11], v[10:11], v[18:19]
	s_cmp_eq_u32 s9, 0
	v_add_nc_u32_e32 v18, 0x1000, v18
	s_cselect_b32 vcc_lo, -1, 0
	s_delay_alu instid0(VALU_DEP_2) | instid1(SALU_CYCLE_1)
	v_dual_lshlrev_b32 v27, 7, v22 :: v_dual_cndmask_b32 v17, v7, v11, vcc_lo
	s_delay_alu instid0(VALU_DEP_3) | instskip(SKIP_2) | instid1(VALU_DEP_4)
	v_cndmask_b32_e32 v16, v6, v10, vcc_lo
	v_mov_b64_e32 v[10:11], 0
	v_mov_b64_e32 v[6:7], 0
	v_add_nc_u32_e32 v24, 0x1000, v27
	v_add_nc_u32_e32 v27, v18, v27
	s_branch .LBB30_9
.LBB30_7:                               ;   in Loop: Header=BB30_9 Depth=1
	s_or_b32 exec_lo, exec_lo, s9
.LBB30_8:                               ;   in Loop: Header=BB30_9 Depth=1
	s_delay_alu instid0(SALU_CYCLE_1) | instskip(SKIP_1) | instid1(SALU_CYCLE_1)
	s_or_b32 exec_lo, exec_lo, s8
	s_add_nc_u64 s[26:27], s[26:27], 1
	v_cmp_ge_i64_e64 s8, s[26:27], s[24:25]
	s_barrier_signal -1
	s_barrier_wait -1
	s_and_b32 vcc_lo, exec_lo, s8
	s_cbranch_vccnz .LBB30_24
.LBB30_9:                               ; =>This Loop Header: Depth=1
                                        ;     Child Loop BB30_19 Depth 2
                                        ;     Child Loop BB30_22 Depth 2
	s_and_saveexec_b32 s8, s3
	s_cbranch_execz .LBB30_14
; %bb.10:                               ;   in Loop: Header=BB30_9 Depth=1
	s_lshl_b64 s[30:31], s[26:27], 2
	s_delay_alu instid0(SALU_CYCLE_1) | instskip(SKIP_3) | instid1(SALU_CYCLE_1)
	s_add_nc_u64 s[30:31], s[12:13], s[30:31]
	s_load_b32 s9, s[30:31], 0x0
	s_wait_kmcnt 0x0
	s_sub_co_i32 s9, s9, s21
	v_mad_u32 v20, s9, s10, v22
	s_delay_alu instid0(VALU_DEP_1) | instskip(NEXT) | instid1(VALU_DEP_1)
	v_ashrrev_i32_e32 v21, 31, v20
	v_mul_u64_e32 v[18:19], s[18:19], v[20:21]
	v_lshl_add_u64 v[20:21], v[20:21], 3, s[16:17]
	s_delay_alu instid0(VALU_DEP_2)
	v_lshl_add_u64 v[18:19], v[18:19], 3, s[16:17]
	s_and_saveexec_b32 s9, s4
	s_cbranch_execz .LBB30_12
; %bb.11:                               ;   in Loop: Header=BB30_9 Depth=1
	s_delay_alu instid0(VALU_DEP_1) | instskip(SKIP_1) | instid1(VALU_DEP_1)
	v_lshl_add_u64 v[28:29], v[8:9], 3, v[18:19]
	v_lshl_add_u64 v[30:31], v[12:13], 3, v[20:21]
	v_dual_cndmask_b32 v29, v29, v31, s6 :: v_dual_cndmask_b32 v28, v28, v30, s6
	global_load_b64 v[28:29], v[28:29], off
	s_wait_loadcnt 0x0
	ds_store_b64 v26, v[28:29]
.LBB30_12:                              ;   in Loop: Header=BB30_9 Depth=1
	s_or_b32 exec_lo, exec_lo, s9
	s_delay_alu instid0(SALU_CYCLE_1)
	s_and_b32 exec_lo, exec_lo, s5
	s_cbranch_execz .LBB30_14
; %bb.13:                               ;   in Loop: Header=BB30_9 Depth=1
	v_lshl_add_u64 v[20:21], v[14:15], 3, v[20:21]
	v_lshl_add_u64 v[18:19], v[0:1], 3, v[18:19]
	s_delay_alu instid0(VALU_DEP_1)
	v_dual_cndmask_b32 v19, v19, v21, s6 :: v_dual_cndmask_b32 v18, v18, v20, s6
	global_load_b64 v[18:19], v[18:19], off
	s_wait_loadcnt 0x0
	ds_store_b64 v26, v[18:19] offset:2048
.LBB30_14:                              ;   in Loop: Header=BB30_9 Depth=1
	s_or_b32 exec_lo, exec_lo, s8
	s_and_saveexec_b32 s8, s14
	s_cbranch_execz .LBB30_16
; %bb.15:                               ;   in Loop: Header=BB30_9 Depth=1
	s_mul_u64 s[30:31], s[26:27], s[28:29]
	s_delay_alu instid0(SALU_CYCLE_1)
	v_lshl_add_u64 v[18:19], s[30:31], 3, v[16:17]
	global_load_b64 v[18:19], v[18:19], off
	s_wait_loadcnt 0x0
	ds_store_b64 v27, v[18:19]
.LBB30_16:                              ;   in Loop: Header=BB30_9 Depth=1
	s_or_b32 exec_lo, exec_lo, s8
	s_wait_dscnt 0x0
	s_barrier_signal -1
	s_barrier_wait -1
	s_and_saveexec_b32 s8, s3
	s_cbranch_execz .LBB30_8
; %bb.17:                               ;   in Loop: Header=BB30_9 Depth=1
	s_and_saveexec_b32 s9, s4
	s_cbranch_execz .LBB30_20
; %bb.18:                               ;   in Loop: Header=BB30_9 Depth=1
	v_dual_mov_b32 v18, v24 :: v_dual_mov_b32 v19, v23
	s_mov_b32 s15, s10
.LBB30_19:                              ;   Parent Loop BB30_9 Depth=1
                                        ; =>  This Inner Loop Header: Depth=2
	ds_load_b64 v[20:21], v19
	ds_load_b64 v[28:29], v18
	v_dual_add_nc_u32 v19, 8, v19 :: v_dual_add_nc_u32 v18, 8, v18
	s_add_co_i32 s15, s15, -1
	s_delay_alu instid0(SALU_CYCLE_1) | instskip(SKIP_2) | instid1(VALU_DEP_1)
	s_cmp_lg_u32 s15, 0
	s_wait_dscnt 0x0
	v_pk_fma_f32 v[10:11], v[28:29], v[20:21], v[10:11] op_sel_hi:[1,0,1]
	v_pk_fma_f32 v[10:11], v[28:29], v[20:21], v[10:11] op_sel:[1,1,0] op_sel_hi:[0,1,1] neg_lo:[1,0,0]
	s_cbranch_scc1 .LBB30_19
.LBB30_20:                              ;   in Loop: Header=BB30_9 Depth=1
	s_or_b32 exec_lo, exec_lo, s9
	s_and_saveexec_b32 s9, s5
	s_cbranch_execz .LBB30_7
; %bb.21:                               ;   in Loop: Header=BB30_9 Depth=1
	v_dual_mov_b32 v18, v24 :: v_dual_mov_b32 v19, v25
	s_mov_b32 s15, s10
.LBB30_22:                              ;   Parent Loop BB30_9 Depth=1
                                        ; =>  This Inner Loop Header: Depth=2
	ds_load_b64 v[20:21], v19
	ds_load_b64 v[28:29], v18
	v_dual_add_nc_u32 v19, 8, v19 :: v_dual_add_nc_u32 v18, 8, v18
	s_add_co_i32 s15, s15, -1
	s_delay_alu instid0(SALU_CYCLE_1) | instskip(SKIP_2) | instid1(VALU_DEP_1)
	s_cmp_lg_u32 s15, 0
	s_wait_dscnt 0x0
	v_pk_fma_f32 v[6:7], v[28:29], v[20:21], v[6:7] op_sel_hi:[1,0,1]
	v_pk_fma_f32 v[6:7], v[28:29], v[20:21], v[6:7] op_sel:[1,1,0] op_sel_hi:[0,1,1] neg_lo:[1,0,0]
	s_cbranch_scc1 .LBB30_22
	s_branch .LBB30_7
.LBB30_23:
	v_mov_b64_e32 v[6:7], 0
	v_mov_b64_e32 v[10:11], 0
.LBB30_24:
	s_load_b64 s[4:5], s[0:1], 0x68
	s_and_b32 s3, s7, s3
	s_delay_alu instid0(SALU_CYCLE_1)
	s_and_b32 exec_lo, exec_lo, s3
	s_cbranch_execz .LBB30_47
; %bb.25:
	s_wait_xcnt 0x0
	s_load_b64 s[0:1], s[0:1], 0x70
	v_mad_u32 v12, s10, s22, v22
	v_cmp_neq_f32_e32 vcc_lo, 0, v4
	s_xor_b32 s2, s2, -1
	s_delay_alu instid0(SALU_CYCLE_1) | instskip(SKIP_2) | instid1(VALU_DEP_2)
	s_or_b32 s2, vcc_lo, s2
	s_cmp_lg_u32 s20, 1
	s_cselect_b32 s3, -1, 0
	v_ashrrev_i32_e32 v13, 31, v12
	s_wait_kmcnt 0x0
	s_delay_alu instid0(VALU_DEP_1) | instskip(SKIP_1) | instid1(VALU_DEP_2)
	v_mul_u64_e32 v[14:15], s[0:1], v[12:13]
	v_lshl_add_u64 v[12:13], v[12:13], 3, s[4:5]
	v_lshl_add_u64 v[14:15], v[14:15], 3, s[4:5]
	s_mov_b32 s4, exec_lo
	v_cmpx_gt_i32_e64 s11, v8
	s_cbranch_execz .LBB30_36
; %bb.26:
	v_ashrrev_i32_e32 v9, 31, v8
	s_and_saveexec_b32 s5, s2
	s_delay_alu instid0(SALU_CYCLE_1)
	s_xor_b32 s5, exec_lo, s5
	s_cbranch_execz .LBB30_31
; %bb.27:
	s_and_b32 vcc_lo, exec_lo, s3
	s_mov_b32 s6, -1
	s_cbranch_vccz .LBB30_29
; %bb.28:
	v_lshl_add_u64 v[16:17], v[8:9], 3, v[14:15]
	v_xor_b32_e32 v20, 0x80000000, v3
	v_dual_mov_b32 v21, v2 :: v_dual_mov_b32 v23, v4
	v_xor_b32_e32 v22, 0x80000000, v5
	global_load_b64 v[18:19], v[16:17], off
	s_mov_b32 s6, 0
	v_pk_mul_f32 v[20:21], v[10:11], v[20:21] op_sel:[1,0]
	s_delay_alu instid0(VALU_DEP_1) | instskip(SKIP_1) | instid1(VALU_DEP_1)
	v_pk_fma_f32 v[20:21], v[2:3], v[10:11], v[20:21] op_sel_hi:[1,0,1]
	s_wait_loadcnt 0x0
	v_pk_fma_f32 v[20:21], v[4:5], v[18:19], v[20:21] op_sel_hi:[1,0,1]
	s_delay_alu instid0(VALU_DEP_1)
	v_pk_fma_f32 v[18:19], v[22:23], v[18:19], v[20:21] op_sel:[0,1,0]
	global_store_b64 v[16:17], v[18:19], off
.LBB30_29:
	s_and_not1_b32 vcc_lo, exec_lo, s6
	s_cbranch_vccnz .LBB30_31
; %bb.30:
	v_mul_u64_e32 v[8:9], s[0:1], v[8:9]
	s_wait_xcnt 0x0
	v_xor_b32_e32 v18, 0x80000000, v3
	v_mov_b32_e32 v19, v2
	s_delay_alu instid0(VALU_DEP_1) | instskip(NEXT) | instid1(VALU_DEP_1)
	v_pk_mul_f32 v[18:19], v[10:11], v[18:19] op_sel:[1,0]
	v_pk_fma_f32 v[10:11], v[2:3], v[10:11], v[18:19] op_sel_hi:[1,0,1]
	v_xor_b32_e32 v18, 0x80000000, v5
	v_mov_b32_e32 v19, v4
	v_lshl_add_u64 v[8:9], v[8:9], 3, v[12:13]
	global_load_b64 v[16:17], v[8:9], off
	s_wait_loadcnt 0x0
	v_pk_fma_f32 v[10:11], v[4:5], v[16:17], v[10:11] op_sel_hi:[1,0,1]
	s_delay_alu instid0(VALU_DEP_1)
	v_pk_fma_f32 v[10:11], v[18:19], v[16:17], v[10:11] op_sel:[0,1,0]
	global_store_b64 v[8:9], v[10:11], off
                                        ; implicit-def: $vgpr10_vgpr11
                                        ; implicit-def: $vgpr8
.LBB30_31:
	s_wait_xcnt 0x0
	s_and_not1_saveexec_b32 s5, s5
	s_cbranch_execz .LBB30_36
; %bb.32:
	v_xor_b32_e32 v16, 0x80000000, v3
	v_mov_b32_e32 v17, v2
	s_and_b32 vcc_lo, exec_lo, s3
	s_mov_b32 s5, -1
	s_delay_alu instid0(VALU_DEP_1) | instskip(NEXT) | instid1(VALU_DEP_1)
	v_pk_mul_f32 v[16:17], v[10:11], v[16:17] op_sel:[1,0]
	v_pk_fma_f32 v[10:11], v[2:3], v[10:11], v[16:17] op_sel_hi:[1,0,1]
	s_cbranch_vccz .LBB30_34
; %bb.33:
	v_lshl_add_u64 v[16:17], v[8:9], 3, v[14:15]
	s_mov_b32 s5, 0
	global_store_b64 v[16:17], v[10:11], off
.LBB30_34:
	s_and_not1_b32 vcc_lo, exec_lo, s5
	s_cbranch_vccnz .LBB30_36
; %bb.35:
	v_mul_u64_e32 v[8:9], s[0:1], v[8:9]
	s_delay_alu instid0(VALU_DEP_1)
	v_lshl_add_u64 v[8:9], v[8:9], 3, v[12:13]
	global_store_b64 v[8:9], v[10:11], off
.LBB30_36:
	s_wait_xcnt 0x0
	s_or_b32 exec_lo, exec_lo, s4
	v_cmp_gt_i32_e32 vcc_lo, s11, v0
	s_and_b32 exec_lo, exec_lo, vcc_lo
	s_cbranch_execz .LBB30_47
; %bb.37:
	v_ashrrev_i32_e32 v1, 31, v0
	v_cndmask_b32_e64 v9, 0, 1, s3
	s_and_saveexec_b32 s3, s2
	s_delay_alu instid0(SALU_CYCLE_1)
	s_xor_b32 s2, exec_lo, s3
	s_cbranch_execz .LBB30_42
; %bb.38:
	s_delay_alu instid0(VALU_DEP_1)
	v_cmp_ne_u32_e32 vcc_lo, 1, v9
	v_xor_b32_e32 v8, 0x80000000, v5
	s_mov_b32 s3, -1
	s_cbranch_vccnz .LBB30_40
; %bb.39:
	v_lshl_add_u64 v[10:11], v[0:1], 3, v[14:15]
	v_xor_b32_e32 v16, 0x80000000, v3
	v_dual_mov_b32 v17, v2 :: v_dual_mov_b32 v9, v4
	s_mov_b32 s3, 0
	global_load_b64 v[14:15], v[10:11], off
	v_pk_mul_f32 v[16:17], v[6:7], v[16:17] op_sel:[1,0]
	s_delay_alu instid0(VALU_DEP_1) | instskip(SKIP_1) | instid1(VALU_DEP_1)
	v_pk_fma_f32 v[16:17], v[2:3], v[6:7], v[16:17] op_sel_hi:[1,0,1]
	s_wait_loadcnt 0x0
	v_pk_fma_f32 v[16:17], v[4:5], v[14:15], v[16:17] op_sel_hi:[1,0,1]
	s_delay_alu instid0(VALU_DEP_1)
	v_pk_fma_f32 v[14:15], v[8:9], v[14:15], v[16:17] op_sel:[0,1,0]
	global_store_b64 v[10:11], v[14:15], off
.LBB30_40:
	s_and_not1_b32 vcc_lo, exec_lo, s3
                                        ; implicit-def: $vgpr9
                                        ; implicit-def: $vgpr14_vgpr15
	s_cbranch_vccnz .LBB30_42
; %bb.41:
	v_mul_u64_e32 v[0:1], s[0:1], v[0:1]
                                        ; implicit-def: $vgpr14_vgpr15
	v_mov_b32_e32 v9, v4
	s_delay_alu instid0(VALU_DEP_2) | instskip(SKIP_4) | instid1(VALU_DEP_1)
	v_lshl_add_u64 v[0:1], v[0:1], 3, v[12:13]
	v_xor_b32_e32 v12, 0x80000000, v3
	v_mov_b32_e32 v13, v2
	global_load_b64 v[10:11], v[0:1], off
	v_pk_mul_f32 v[12:13], v[6:7], v[12:13] op_sel:[1,0]
	v_pk_fma_f32 v[2:3], v[2:3], v[6:7], v[12:13] op_sel_hi:[1,0,1]
                                        ; implicit-def: $vgpr12_vgpr13
                                        ; implicit-def: $vgpr6_vgpr7
	s_wait_loadcnt 0x0
	s_delay_alu instid0(VALU_DEP_1) | instskip(NEXT) | instid1(VALU_DEP_1)
	v_pk_fma_f32 v[2:3], v[4:5], v[10:11], v[2:3] op_sel_hi:[1,0,1]
	v_pk_fma_f32 v[2:3], v[8:9], v[10:11], v[2:3] op_sel:[0,1,0]
                                        ; implicit-def: $vgpr9
	global_store_b64 v[0:1], v[2:3], off
                                        ; implicit-def: $vgpr2_vgpr3
                                        ; implicit-def: $vgpr0
.LBB30_42:
	s_wait_xcnt 0x0
	s_and_not1_saveexec_b32 s2, s2
	s_cbranch_execz .LBB30_47
; %bb.43:
	v_xor_b32_e32 v4, 0x80000000, v3
	v_mov_b32_e32 v5, v2
	v_cmp_ne_u32_e32 vcc_lo, 1, v9
	s_mov_b32 s2, -1
	s_delay_alu instid0(VALU_DEP_2) | instskip(NEXT) | instid1(VALU_DEP_1)
	v_pk_mul_f32 v[4:5], v[6:7], v[4:5] op_sel:[1,0]
	v_pk_fma_f32 v[2:3], v[2:3], v[6:7], v[4:5] op_sel_hi:[1,0,1]
	s_cbranch_vccnz .LBB30_45
; %bb.44:
	v_lshl_add_u64 v[4:5], v[0:1], 3, v[14:15]
	s_mov_b32 s2, 0
	global_store_b64 v[4:5], v[2:3], off
.LBB30_45:
	s_and_not1_b32 vcc_lo, exec_lo, s2
	s_cbranch_vccnz .LBB30_47
; %bb.46:
	v_mul_u64_e32 v[0:1], s[0:1], v[0:1]
	s_delay_alu instid0(VALU_DEP_1)
	v_lshl_add_u64 v[0:1], v[0:1], 3, v[12:13]
	global_store_b64 v[0:1], v[2:3], off
.LBB30_47:
	s_endpgm
	.section	.rodata,"a",@progbits
	.p2align	6, 0x0
	.amdhsa_kernel _ZN9rocsparseL31bsrmm_large_blockdim_kernel_extILj16ELj16ELj2Eli21rocsparse_complex_numIfES2_S2_S2_EEvb20rocsparse_direction_T3_S4_llNS_24const_host_device_scalarIT7_EEPKT2_PKS4_PKT4_S4_PKT5_llS7_PT6_ll16rocsparse_order_21rocsparse_index_base_b
		.amdhsa_group_segment_fixed_size 6144
		.amdhsa_private_segment_fixed_size 0
		.amdhsa_kernarg_size 140
		.amdhsa_user_sgpr_count 2
		.amdhsa_user_sgpr_dispatch_ptr 0
		.amdhsa_user_sgpr_queue_ptr 0
		.amdhsa_user_sgpr_kernarg_segment_ptr 1
		.amdhsa_user_sgpr_dispatch_id 0
		.amdhsa_user_sgpr_kernarg_preload_length 0
		.amdhsa_user_sgpr_kernarg_preload_offset 0
		.amdhsa_user_sgpr_private_segment_size 0
		.amdhsa_wavefront_size32 1
		.amdhsa_uses_dynamic_stack 0
		.amdhsa_enable_private_segment 0
		.amdhsa_system_sgpr_workgroup_id_x 1
		.amdhsa_system_sgpr_workgroup_id_y 1
		.amdhsa_system_sgpr_workgroup_id_z 0
		.amdhsa_system_sgpr_workgroup_info 0
		.amdhsa_system_vgpr_workitem_id 1
		.amdhsa_next_free_vgpr 32
		.amdhsa_next_free_sgpr 32
		.amdhsa_named_barrier_count 0
		.amdhsa_reserve_vcc 1
		.amdhsa_float_round_mode_32 0
		.amdhsa_float_round_mode_16_64 0
		.amdhsa_float_denorm_mode_32 3
		.amdhsa_float_denorm_mode_16_64 3
		.amdhsa_fp16_overflow 0
		.amdhsa_memory_ordered 1
		.amdhsa_forward_progress 1
		.amdhsa_inst_pref_size 17
		.amdhsa_round_robin_scheduling 0
		.amdhsa_exception_fp_ieee_invalid_op 0
		.amdhsa_exception_fp_denorm_src 0
		.amdhsa_exception_fp_ieee_div_zero 0
		.amdhsa_exception_fp_ieee_overflow 0
		.amdhsa_exception_fp_ieee_underflow 0
		.amdhsa_exception_fp_ieee_inexact 0
		.amdhsa_exception_int_div_zero 0
	.end_amdhsa_kernel
	.section	.text._ZN9rocsparseL31bsrmm_large_blockdim_kernel_extILj16ELj16ELj2Eli21rocsparse_complex_numIfES2_S2_S2_EEvb20rocsparse_direction_T3_S4_llNS_24const_host_device_scalarIT7_EEPKT2_PKS4_PKT4_S4_PKT5_llS7_PT6_ll16rocsparse_order_21rocsparse_index_base_b,"axG",@progbits,_ZN9rocsparseL31bsrmm_large_blockdim_kernel_extILj16ELj16ELj2Eli21rocsparse_complex_numIfES2_S2_S2_EEvb20rocsparse_direction_T3_S4_llNS_24const_host_device_scalarIT7_EEPKT2_PKS4_PKT4_S4_PKT5_llS7_PT6_ll16rocsparse_order_21rocsparse_index_base_b,comdat
.Lfunc_end30:
	.size	_ZN9rocsparseL31bsrmm_large_blockdim_kernel_extILj16ELj16ELj2Eli21rocsparse_complex_numIfES2_S2_S2_EEvb20rocsparse_direction_T3_S4_llNS_24const_host_device_scalarIT7_EEPKT2_PKS4_PKT4_S4_PKT5_llS7_PT6_ll16rocsparse_order_21rocsparse_index_base_b, .Lfunc_end30-_ZN9rocsparseL31bsrmm_large_blockdim_kernel_extILj16ELj16ELj2Eli21rocsparse_complex_numIfES2_S2_S2_EEvb20rocsparse_direction_T3_S4_llNS_24const_host_device_scalarIT7_EEPKT2_PKS4_PKT4_S4_PKT5_llS7_PT6_ll16rocsparse_order_21rocsparse_index_base_b
                                        ; -- End function
	.set _ZN9rocsparseL31bsrmm_large_blockdim_kernel_extILj16ELj16ELj2Eli21rocsparse_complex_numIfES2_S2_S2_EEvb20rocsparse_direction_T3_S4_llNS_24const_host_device_scalarIT7_EEPKT2_PKS4_PKT4_S4_PKT5_llS7_PT6_ll16rocsparse_order_21rocsparse_index_base_b.num_vgpr, 32
	.set _ZN9rocsparseL31bsrmm_large_blockdim_kernel_extILj16ELj16ELj2Eli21rocsparse_complex_numIfES2_S2_S2_EEvb20rocsparse_direction_T3_S4_llNS_24const_host_device_scalarIT7_EEPKT2_PKS4_PKT4_S4_PKT5_llS7_PT6_ll16rocsparse_order_21rocsparse_index_base_b.num_agpr, 0
	.set _ZN9rocsparseL31bsrmm_large_blockdim_kernel_extILj16ELj16ELj2Eli21rocsparse_complex_numIfES2_S2_S2_EEvb20rocsparse_direction_T3_S4_llNS_24const_host_device_scalarIT7_EEPKT2_PKS4_PKT4_S4_PKT5_llS7_PT6_ll16rocsparse_order_21rocsparse_index_base_b.numbered_sgpr, 32
	.set _ZN9rocsparseL31bsrmm_large_blockdim_kernel_extILj16ELj16ELj2Eli21rocsparse_complex_numIfES2_S2_S2_EEvb20rocsparse_direction_T3_S4_llNS_24const_host_device_scalarIT7_EEPKT2_PKS4_PKT4_S4_PKT5_llS7_PT6_ll16rocsparse_order_21rocsparse_index_base_b.num_named_barrier, 0
	.set _ZN9rocsparseL31bsrmm_large_blockdim_kernel_extILj16ELj16ELj2Eli21rocsparse_complex_numIfES2_S2_S2_EEvb20rocsparse_direction_T3_S4_llNS_24const_host_device_scalarIT7_EEPKT2_PKS4_PKT4_S4_PKT5_llS7_PT6_ll16rocsparse_order_21rocsparse_index_base_b.private_seg_size, 0
	.set _ZN9rocsparseL31bsrmm_large_blockdim_kernel_extILj16ELj16ELj2Eli21rocsparse_complex_numIfES2_S2_S2_EEvb20rocsparse_direction_T3_S4_llNS_24const_host_device_scalarIT7_EEPKT2_PKS4_PKT4_S4_PKT5_llS7_PT6_ll16rocsparse_order_21rocsparse_index_base_b.uses_vcc, 1
	.set _ZN9rocsparseL31bsrmm_large_blockdim_kernel_extILj16ELj16ELj2Eli21rocsparse_complex_numIfES2_S2_S2_EEvb20rocsparse_direction_T3_S4_llNS_24const_host_device_scalarIT7_EEPKT2_PKS4_PKT4_S4_PKT5_llS7_PT6_ll16rocsparse_order_21rocsparse_index_base_b.uses_flat_scratch, 1
	.set _ZN9rocsparseL31bsrmm_large_blockdim_kernel_extILj16ELj16ELj2Eli21rocsparse_complex_numIfES2_S2_S2_EEvb20rocsparse_direction_T3_S4_llNS_24const_host_device_scalarIT7_EEPKT2_PKS4_PKT4_S4_PKT5_llS7_PT6_ll16rocsparse_order_21rocsparse_index_base_b.has_dyn_sized_stack, 0
	.set _ZN9rocsparseL31bsrmm_large_blockdim_kernel_extILj16ELj16ELj2Eli21rocsparse_complex_numIfES2_S2_S2_EEvb20rocsparse_direction_T3_S4_llNS_24const_host_device_scalarIT7_EEPKT2_PKS4_PKT4_S4_PKT5_llS7_PT6_ll16rocsparse_order_21rocsparse_index_base_b.has_recursion, 0
	.set _ZN9rocsparseL31bsrmm_large_blockdim_kernel_extILj16ELj16ELj2Eli21rocsparse_complex_numIfES2_S2_S2_EEvb20rocsparse_direction_T3_S4_llNS_24const_host_device_scalarIT7_EEPKT2_PKS4_PKT4_S4_PKT5_llS7_PT6_ll16rocsparse_order_21rocsparse_index_base_b.has_indirect_call, 0
	.section	.AMDGPU.csdata,"",@progbits
; Kernel info:
; codeLenInByte = 2076
; TotalNumSgprs: 34
; NumVgprs: 32
; ScratchSize: 0
; MemoryBound: 0
; FloatMode: 240
; IeeeMode: 1
; LDSByteSize: 6144 bytes/workgroup (compile time only)
; SGPRBlocks: 0
; VGPRBlocks: 1
; NumSGPRsForWavesPerEU: 34
; NumVGPRsForWavesPerEU: 32
; NamedBarCnt: 0
; Occupancy: 16
; WaveLimiterHint : 1
; COMPUTE_PGM_RSRC2:SCRATCH_EN: 0
; COMPUTE_PGM_RSRC2:USER_SGPR: 2
; COMPUTE_PGM_RSRC2:TRAP_HANDLER: 0
; COMPUTE_PGM_RSRC2:TGID_X_EN: 1
; COMPUTE_PGM_RSRC2:TGID_Y_EN: 1
; COMPUTE_PGM_RSRC2:TGID_Z_EN: 0
; COMPUTE_PGM_RSRC2:TIDIG_COMP_CNT: 1
	.section	.text._ZN9rocsparseL31bsrmm_large_blockdim_kernel_extILj32ELj32ELj2Eli21rocsparse_complex_numIfES2_S2_S2_EEvb20rocsparse_direction_T3_S4_llNS_24const_host_device_scalarIT7_EEPKT2_PKS4_PKT4_S4_PKT5_llS7_PT6_ll16rocsparse_order_21rocsparse_index_base_b,"axG",@progbits,_ZN9rocsparseL31bsrmm_large_blockdim_kernel_extILj32ELj32ELj2Eli21rocsparse_complex_numIfES2_S2_S2_EEvb20rocsparse_direction_T3_S4_llNS_24const_host_device_scalarIT7_EEPKT2_PKS4_PKT4_S4_PKT5_llS7_PT6_ll16rocsparse_order_21rocsparse_index_base_b,comdat
	.globl	_ZN9rocsparseL31bsrmm_large_blockdim_kernel_extILj32ELj32ELj2Eli21rocsparse_complex_numIfES2_S2_S2_EEvb20rocsparse_direction_T3_S4_llNS_24const_host_device_scalarIT7_EEPKT2_PKS4_PKT4_S4_PKT5_llS7_PT6_ll16rocsparse_order_21rocsparse_index_base_b ; -- Begin function _ZN9rocsparseL31bsrmm_large_blockdim_kernel_extILj32ELj32ELj2Eli21rocsparse_complex_numIfES2_S2_S2_EEvb20rocsparse_direction_T3_S4_llNS_24const_host_device_scalarIT7_EEPKT2_PKS4_PKT4_S4_PKT5_llS7_PT6_ll16rocsparse_order_21rocsparse_index_base_b
	.p2align	8
	.type	_ZN9rocsparseL31bsrmm_large_blockdim_kernel_extILj32ELj32ELj2Eli21rocsparse_complex_numIfES2_S2_S2_EEvb20rocsparse_direction_T3_S4_llNS_24const_host_device_scalarIT7_EEPKT2_PKS4_PKT4_S4_PKT5_llS7_PT6_ll16rocsparse_order_21rocsparse_index_base_b,@function
_ZN9rocsparseL31bsrmm_large_blockdim_kernel_extILj32ELj32ELj2Eli21rocsparse_complex_numIfES2_S2_S2_EEvb20rocsparse_direction_T3_S4_llNS_24const_host_device_scalarIT7_EEPKT2_PKS4_PKT4_S4_PKT5_llS7_PT6_ll16rocsparse_order_21rocsparse_index_base_b: ; @_ZN9rocsparseL31bsrmm_large_blockdim_kernel_extILj32ELj32ELj2Eli21rocsparse_complex_numIfES2_S2_S2_EEvb20rocsparse_direction_T3_S4_llNS_24const_host_device_scalarIT7_EEPKT2_PKS4_PKT4_S4_PKT5_llS7_PT6_ll16rocsparse_order_21rocsparse_index_base_b
; %bb.0:
	s_clause 0x2
	s_load_b96 s[20:22], s[0:1], 0x80
	s_load_b64 s[2:3], s[0:1], 0x20
	s_load_b64 s[4:5], s[0:1], 0x60
	v_mov_b32_e32 v1, 0
	s_add_nc_u64 s[6:7], s[0:1], 32
	s_add_nc_u64 s[8:9], s[0:1], 0x60
	s_wait_kmcnt 0x0
	s_bitcmp1_b32 s22, 0
	s_cselect_b32 s3, s7, s3
	s_cselect_b32 s2, s6, s2
	;; [unrolled: 1-line block ×4, first 2 shown]
	s_clause 0x1
	flat_load_b64 v[2:3], v1, s[2:3]
	flat_load_b64 v[4:5], v1, s[4:5]
	s_wait_loadcnt_dscnt 0x101
	v_cmp_eq_f32_e32 vcc_lo, 0, v2
	v_cmp_eq_f32_e64 s3, 0, v3
	s_wait_loadcnt_dscnt 0x0
	v_cmp_eq_f32_e64 s4, 1.0, v4
	v_cmp_eq_f32_e64 s2, 0, v5
	s_and_b32 s3, vcc_lo, s3
	s_and_b32 s4, s4, s2
	s_delay_alu instid0(SALU_CYCLE_1) | instskip(NEXT) | instid1(SALU_CYCLE_1)
	s_and_b32 s3, s3, s4
	s_xor_b32 s3, s3, -1
	s_delay_alu instid0(SALU_CYCLE_1)
	s_and_saveexec_b32 s4, s3
	s_cbranch_execz .LBB31_47
; %bb.1:
	s_clause 0x1
	s_load_b128 s[8:11], s[0:1], 0x0
	s_load_b64 s[4:5], s[0:1], 0x28
	s_bfe_u32 s3, ttmp6, 0x4000c
	s_and_b32 s6, ttmp6, 15
	s_add_co_i32 s3, s3, 1
	s_mov_b64 s[24:25], 0
	s_mul_i32 s7, ttmp9, s3
	s_getreg_b32 s3, hwreg(HW_REG_IB_STS2, 6, 4)
	s_add_co_i32 s6, s6, s7
	s_cmp_eq_u32 s3, 0
	s_mov_b64 s[26:27], 0
	s_cselect_b32 s22, ttmp9, s6
	s_wait_kmcnt 0x0
	s_cmp_lt_i32 s22, s10
	s_cselect_b32 s7, -1, 0
	s_cmp_ge_i32 s22, s10
	s_cbranch_scc1 .LBB31_3
; %bb.2:
	s_ashr_i32 s23, s22, 31
	s_mov_b32 s15, 0
	s_lshl_b64 s[12:13], s[22:23], 3
	s_mov_b32 s14, s21
	s_add_nc_u64 s[12:13], s[4:5], s[12:13]
	s_load_b64 s[12:13], s[12:13], 0x0
	s_wait_kmcnt 0x0
	s_sub_nc_u64 s[26:27], s[12:13], s[14:15]
.LBB31_3:
	s_and_not1_b32 vcc_lo, exec_lo, s7
	s_cbranch_vccnz .LBB31_5
; %bb.4:
	s_ashr_i32 s23, s22, 31
	s_delay_alu instid0(SALU_CYCLE_1) | instskip(NEXT) | instid1(SALU_CYCLE_1)
	s_lshl_b64 s[12:13], s[22:23], 3
	s_add_nc_u64 s[4:5], s[4:5], s[12:13]
	s_mov_b32 s13, 0
	s_load_b64 s[4:5], s[4:5], 0x8
	s_mov_b32 s12, s21
	s_wait_kmcnt 0x0
	s_sub_nc_u64 s[24:25], s[4:5], s[12:13]
.LBB31_5:
	s_bfe_u32 s4, ttmp6, 0x40010
	s_load_b32 s10, s[0:1], 0x40
	s_add_co_i32 s4, s4, 1
	s_bfe_u32 s5, ttmp6, 0x40004
	s_mul_i32 s4, ttmp7, s4
	v_bfe_u32 v6, v0, 10, 10
	s_add_co_i32 s5, s5, s4
	s_cmp_eq_u32 s3, 0
	v_and_b32_e32 v22, 0x3ff, v0
	s_cselect_b32 s3, ttmp7, s5
	s_mov_b32 s29, 0
	v_lshl_add_u32 v8, s3, 6, v6
	v_cmp_ge_i64_e64 s3, s[26:27], s[24:25]
	s_delay_alu instid0(VALU_DEP_2)
	v_add_nc_u32_e32 v0, 32, v8
	v_cmp_gt_i32_e64 s4, s11, v8
	s_and_b32 vcc_lo, exec_lo, s3
	s_wait_kmcnt 0x0
	v_cmp_gt_i32_e64 s3, s10, v22
	v_cmp_gt_i32_e64 s5, s11, v0
	s_cbranch_vccnz .LBB31_23
; %bb.6:
	s_clause 0x1
	s_load_b128 s[12:15], s[0:1], 0x30
	s_load_b128 s[16:19], s[0:1], 0x48
	v_mul_lo_u32 v10, s10, v6
	v_dual_mov_b32 v11, 0 :: v_dual_ashrrev_i32 v9, 31, v8
	v_dual_ashrrev_i32 v1, 31, v0 :: v_dual_lshlrev_b32 v18, 3, v6
	v_cmp_gt_i32_e32 vcc_lo, s10, v6
	s_delay_alu instid0(VALU_DEP_3) | instskip(SKIP_2) | instid1(VALU_DEP_1)
	v_dual_mov_b32 v21, v11 :: v_dual_lshlrev_b32 v20, 3, v22
	v_dual_mov_b32 v19, v11 :: v_dual_lshlrev_b32 v23, 8, v6
	s_mul_i32 s28, s10, s10
	v_add_nc_u32_e32 v26, v20, v23
	v_add_nc_u32_e32 v25, 0x2000, v23
	s_wait_kmcnt 0x0
	v_lshl_add_u64 v[16:17], v[10:11], 3, s[14:15]
	v_mul_u64_e32 v[12:13], s[18:19], v[8:9]
	v_mul_u64_e32 v[14:15], s[18:19], v[0:1]
	v_mul_lo_u32 v10, s10, v22
	s_delay_alu instid0(VALU_DEP_4) | instskip(NEXT) | instid1(VALU_DEP_2)
	v_add_nc_u64_e32 v[6:7], v[16:17], v[20:21]
	v_lshl_add_u64 v[10:11], v[10:11], 3, s[14:15]
	s_and_b32 s14, s3, vcc_lo
	s_bitcmp1_b32 s8, 0
	s_cselect_b32 s6, -1, 0
	s_delay_alu instid0(VALU_DEP_1)
	v_add_nc_u64_e32 v[10:11], v[10:11], v[18:19]
	s_cmp_eq_u32 s9, 0
	v_or_b32_e32 v18, 0x4000, v18
	s_cselect_b32 vcc_lo, -1, 0
	s_delay_alu instid0(VALU_DEP_2) | instid1(SALU_CYCLE_1)
	v_dual_lshlrev_b32 v27, 8, v22 :: v_dual_cndmask_b32 v17, v7, v11, vcc_lo
	s_delay_alu instid0(VALU_DEP_3) | instskip(SKIP_2) | instid1(VALU_DEP_4)
	v_cndmask_b32_e32 v16, v6, v10, vcc_lo
	v_mov_b64_e32 v[10:11], 0
	v_mov_b64_e32 v[6:7], 0
	v_add_nc_u32_e32 v24, 0x4000, v27
	v_add_nc_u32_e32 v27, v18, v27
	s_branch .LBB31_9
.LBB31_7:                               ;   in Loop: Header=BB31_9 Depth=1
	s_or_b32 exec_lo, exec_lo, s9
.LBB31_8:                               ;   in Loop: Header=BB31_9 Depth=1
	s_delay_alu instid0(SALU_CYCLE_1) | instskip(SKIP_1) | instid1(SALU_CYCLE_1)
	s_or_b32 exec_lo, exec_lo, s8
	s_add_nc_u64 s[26:27], s[26:27], 1
	v_cmp_ge_i64_e64 s8, s[26:27], s[24:25]
	s_barrier_signal -1
	s_barrier_wait -1
	s_and_b32 vcc_lo, exec_lo, s8
	s_cbranch_vccnz .LBB31_24
.LBB31_9:                               ; =>This Loop Header: Depth=1
                                        ;     Child Loop BB31_19 Depth 2
                                        ;     Child Loop BB31_22 Depth 2
	s_and_saveexec_b32 s8, s3
	s_cbranch_execz .LBB31_14
; %bb.10:                               ;   in Loop: Header=BB31_9 Depth=1
	s_lshl_b64 s[30:31], s[26:27], 2
	s_delay_alu instid0(SALU_CYCLE_1) | instskip(SKIP_3) | instid1(SALU_CYCLE_1)
	s_add_nc_u64 s[30:31], s[12:13], s[30:31]
	s_load_b32 s9, s[30:31], 0x0
	s_wait_kmcnt 0x0
	s_sub_co_i32 s9, s9, s21
	v_mad_u32 v20, s9, s10, v22
	s_delay_alu instid0(VALU_DEP_1) | instskip(NEXT) | instid1(VALU_DEP_1)
	v_ashrrev_i32_e32 v21, 31, v20
	v_mul_u64_e32 v[18:19], s[18:19], v[20:21]
	v_lshl_add_u64 v[20:21], v[20:21], 3, s[16:17]
	s_delay_alu instid0(VALU_DEP_2)
	v_lshl_add_u64 v[18:19], v[18:19], 3, s[16:17]
	s_and_saveexec_b32 s9, s4
	s_cbranch_execz .LBB31_12
; %bb.11:                               ;   in Loop: Header=BB31_9 Depth=1
	s_delay_alu instid0(VALU_DEP_1) | instskip(SKIP_1) | instid1(VALU_DEP_1)
	v_lshl_add_u64 v[28:29], v[8:9], 3, v[18:19]
	v_lshl_add_u64 v[30:31], v[12:13], 3, v[20:21]
	v_dual_cndmask_b32 v29, v29, v31, s6 :: v_dual_cndmask_b32 v28, v28, v30, s6
	global_load_b64 v[28:29], v[28:29], off
	s_wait_loadcnt 0x0
	ds_store_b64 v26, v[28:29]
.LBB31_12:                              ;   in Loop: Header=BB31_9 Depth=1
	s_or_b32 exec_lo, exec_lo, s9
	s_delay_alu instid0(SALU_CYCLE_1)
	s_and_b32 exec_lo, exec_lo, s5
	s_cbranch_execz .LBB31_14
; %bb.13:                               ;   in Loop: Header=BB31_9 Depth=1
	v_lshl_add_u64 v[20:21], v[14:15], 3, v[20:21]
	v_lshl_add_u64 v[18:19], v[0:1], 3, v[18:19]
	s_delay_alu instid0(VALU_DEP_1)
	v_dual_cndmask_b32 v19, v19, v21, s6 :: v_dual_cndmask_b32 v18, v18, v20, s6
	global_load_b64 v[18:19], v[18:19], off
	s_wait_loadcnt 0x0
	ds_store_b64 v26, v[18:19] offset:8192
.LBB31_14:                              ;   in Loop: Header=BB31_9 Depth=1
	s_or_b32 exec_lo, exec_lo, s8
	s_and_saveexec_b32 s8, s14
	s_cbranch_execz .LBB31_16
; %bb.15:                               ;   in Loop: Header=BB31_9 Depth=1
	s_mul_u64 s[30:31], s[26:27], s[28:29]
	s_delay_alu instid0(SALU_CYCLE_1)
	v_lshl_add_u64 v[18:19], s[30:31], 3, v[16:17]
	global_load_b64 v[18:19], v[18:19], off
	s_wait_loadcnt 0x0
	ds_store_b64 v27, v[18:19]
.LBB31_16:                              ;   in Loop: Header=BB31_9 Depth=1
	s_or_b32 exec_lo, exec_lo, s8
	s_wait_dscnt 0x0
	s_barrier_signal -1
	s_barrier_wait -1
	s_and_saveexec_b32 s8, s3
	s_cbranch_execz .LBB31_8
; %bb.17:                               ;   in Loop: Header=BB31_9 Depth=1
	s_and_saveexec_b32 s9, s4
	s_cbranch_execz .LBB31_20
; %bb.18:                               ;   in Loop: Header=BB31_9 Depth=1
	v_dual_mov_b32 v18, v24 :: v_dual_mov_b32 v19, v23
	s_mov_b32 s15, s10
.LBB31_19:                              ;   Parent Loop BB31_9 Depth=1
                                        ; =>  This Inner Loop Header: Depth=2
	ds_load_b64 v[20:21], v19
	ds_load_b64 v[28:29], v18
	v_dual_add_nc_u32 v19, 8, v19 :: v_dual_add_nc_u32 v18, 8, v18
	s_add_co_i32 s15, s15, -1
	s_delay_alu instid0(SALU_CYCLE_1) | instskip(SKIP_2) | instid1(VALU_DEP_1)
	s_cmp_lg_u32 s15, 0
	s_wait_dscnt 0x0
	v_pk_fma_f32 v[10:11], v[28:29], v[20:21], v[10:11] op_sel_hi:[1,0,1]
	v_pk_fma_f32 v[10:11], v[28:29], v[20:21], v[10:11] op_sel:[1,1,0] op_sel_hi:[0,1,1] neg_lo:[1,0,0]
	s_cbranch_scc1 .LBB31_19
.LBB31_20:                              ;   in Loop: Header=BB31_9 Depth=1
	s_or_b32 exec_lo, exec_lo, s9
	s_and_saveexec_b32 s9, s5
	s_cbranch_execz .LBB31_7
; %bb.21:                               ;   in Loop: Header=BB31_9 Depth=1
	v_dual_mov_b32 v18, v24 :: v_dual_mov_b32 v19, v25
	s_mov_b32 s15, s10
.LBB31_22:                              ;   Parent Loop BB31_9 Depth=1
                                        ; =>  This Inner Loop Header: Depth=2
	ds_load_b64 v[20:21], v19
	ds_load_b64 v[28:29], v18
	v_dual_add_nc_u32 v19, 8, v19 :: v_dual_add_nc_u32 v18, 8, v18
	s_add_co_i32 s15, s15, -1
	s_delay_alu instid0(SALU_CYCLE_1) | instskip(SKIP_2) | instid1(VALU_DEP_1)
	s_cmp_lg_u32 s15, 0
	s_wait_dscnt 0x0
	v_pk_fma_f32 v[6:7], v[28:29], v[20:21], v[6:7] op_sel_hi:[1,0,1]
	v_pk_fma_f32 v[6:7], v[28:29], v[20:21], v[6:7] op_sel:[1,1,0] op_sel_hi:[0,1,1] neg_lo:[1,0,0]
	s_cbranch_scc1 .LBB31_22
	s_branch .LBB31_7
.LBB31_23:
	v_mov_b64_e32 v[6:7], 0
	v_mov_b64_e32 v[10:11], 0
.LBB31_24:
	s_load_b64 s[4:5], s[0:1], 0x68
	s_and_b32 s3, s7, s3
	s_delay_alu instid0(SALU_CYCLE_1)
	s_and_b32 exec_lo, exec_lo, s3
	s_cbranch_execz .LBB31_47
; %bb.25:
	s_wait_xcnt 0x0
	s_load_b64 s[0:1], s[0:1], 0x70
	v_mad_u32 v12, s10, s22, v22
	v_cmp_neq_f32_e32 vcc_lo, 0, v4
	s_xor_b32 s2, s2, -1
	s_delay_alu instid0(SALU_CYCLE_1) | instskip(SKIP_2) | instid1(VALU_DEP_2)
	s_or_b32 s2, vcc_lo, s2
	s_cmp_lg_u32 s20, 1
	s_cselect_b32 s3, -1, 0
	v_ashrrev_i32_e32 v13, 31, v12
	s_wait_kmcnt 0x0
	s_delay_alu instid0(VALU_DEP_1) | instskip(SKIP_1) | instid1(VALU_DEP_2)
	v_mul_u64_e32 v[14:15], s[0:1], v[12:13]
	v_lshl_add_u64 v[12:13], v[12:13], 3, s[4:5]
	v_lshl_add_u64 v[14:15], v[14:15], 3, s[4:5]
	s_mov_b32 s4, exec_lo
	v_cmpx_gt_i32_e64 s11, v8
	s_cbranch_execz .LBB31_36
; %bb.26:
	v_ashrrev_i32_e32 v9, 31, v8
	s_and_saveexec_b32 s5, s2
	s_delay_alu instid0(SALU_CYCLE_1)
	s_xor_b32 s5, exec_lo, s5
	s_cbranch_execz .LBB31_31
; %bb.27:
	s_and_b32 vcc_lo, exec_lo, s3
	s_mov_b32 s6, -1
	s_cbranch_vccz .LBB31_29
; %bb.28:
	v_lshl_add_u64 v[16:17], v[8:9], 3, v[14:15]
	v_xor_b32_e32 v20, 0x80000000, v3
	v_dual_mov_b32 v21, v2 :: v_dual_mov_b32 v23, v4
	v_xor_b32_e32 v22, 0x80000000, v5
	global_load_b64 v[18:19], v[16:17], off
	s_mov_b32 s6, 0
	v_pk_mul_f32 v[20:21], v[10:11], v[20:21] op_sel:[1,0]
	s_delay_alu instid0(VALU_DEP_1) | instskip(SKIP_1) | instid1(VALU_DEP_1)
	v_pk_fma_f32 v[20:21], v[2:3], v[10:11], v[20:21] op_sel_hi:[1,0,1]
	s_wait_loadcnt 0x0
	v_pk_fma_f32 v[20:21], v[4:5], v[18:19], v[20:21] op_sel_hi:[1,0,1]
	s_delay_alu instid0(VALU_DEP_1)
	v_pk_fma_f32 v[18:19], v[22:23], v[18:19], v[20:21] op_sel:[0,1,0]
	global_store_b64 v[16:17], v[18:19], off
.LBB31_29:
	s_and_not1_b32 vcc_lo, exec_lo, s6
	s_cbranch_vccnz .LBB31_31
; %bb.30:
	v_mul_u64_e32 v[8:9], s[0:1], v[8:9]
	s_wait_xcnt 0x0
	v_xor_b32_e32 v18, 0x80000000, v3
	v_mov_b32_e32 v19, v2
	s_delay_alu instid0(VALU_DEP_1) | instskip(NEXT) | instid1(VALU_DEP_1)
	v_pk_mul_f32 v[18:19], v[10:11], v[18:19] op_sel:[1,0]
	v_pk_fma_f32 v[10:11], v[2:3], v[10:11], v[18:19] op_sel_hi:[1,0,1]
	v_xor_b32_e32 v18, 0x80000000, v5
	v_mov_b32_e32 v19, v4
	v_lshl_add_u64 v[8:9], v[8:9], 3, v[12:13]
	global_load_b64 v[16:17], v[8:9], off
	s_wait_loadcnt 0x0
	v_pk_fma_f32 v[10:11], v[4:5], v[16:17], v[10:11] op_sel_hi:[1,0,1]
	s_delay_alu instid0(VALU_DEP_1)
	v_pk_fma_f32 v[10:11], v[18:19], v[16:17], v[10:11] op_sel:[0,1,0]
	global_store_b64 v[8:9], v[10:11], off
                                        ; implicit-def: $vgpr10_vgpr11
                                        ; implicit-def: $vgpr8
.LBB31_31:
	s_wait_xcnt 0x0
	s_and_not1_saveexec_b32 s5, s5
	s_cbranch_execz .LBB31_36
; %bb.32:
	v_xor_b32_e32 v16, 0x80000000, v3
	v_mov_b32_e32 v17, v2
	s_and_b32 vcc_lo, exec_lo, s3
	s_mov_b32 s5, -1
	s_delay_alu instid0(VALU_DEP_1) | instskip(NEXT) | instid1(VALU_DEP_1)
	v_pk_mul_f32 v[16:17], v[10:11], v[16:17] op_sel:[1,0]
	v_pk_fma_f32 v[10:11], v[2:3], v[10:11], v[16:17] op_sel_hi:[1,0,1]
	s_cbranch_vccz .LBB31_34
; %bb.33:
	v_lshl_add_u64 v[16:17], v[8:9], 3, v[14:15]
	s_mov_b32 s5, 0
	global_store_b64 v[16:17], v[10:11], off
.LBB31_34:
	s_and_not1_b32 vcc_lo, exec_lo, s5
	s_cbranch_vccnz .LBB31_36
; %bb.35:
	v_mul_u64_e32 v[8:9], s[0:1], v[8:9]
	s_delay_alu instid0(VALU_DEP_1)
	v_lshl_add_u64 v[8:9], v[8:9], 3, v[12:13]
	global_store_b64 v[8:9], v[10:11], off
.LBB31_36:
	s_wait_xcnt 0x0
	s_or_b32 exec_lo, exec_lo, s4
	v_cmp_gt_i32_e32 vcc_lo, s11, v0
	s_and_b32 exec_lo, exec_lo, vcc_lo
	s_cbranch_execz .LBB31_47
; %bb.37:
	v_ashrrev_i32_e32 v1, 31, v0
	v_cndmask_b32_e64 v9, 0, 1, s3
	s_and_saveexec_b32 s3, s2
	s_delay_alu instid0(SALU_CYCLE_1)
	s_xor_b32 s2, exec_lo, s3
	s_cbranch_execz .LBB31_42
; %bb.38:
	s_delay_alu instid0(VALU_DEP_1)
	v_cmp_ne_u32_e32 vcc_lo, 1, v9
	v_xor_b32_e32 v8, 0x80000000, v5
	s_mov_b32 s3, -1
	s_cbranch_vccnz .LBB31_40
; %bb.39:
	v_lshl_add_u64 v[10:11], v[0:1], 3, v[14:15]
	v_xor_b32_e32 v16, 0x80000000, v3
	v_dual_mov_b32 v17, v2 :: v_dual_mov_b32 v9, v4
	s_mov_b32 s3, 0
	global_load_b64 v[14:15], v[10:11], off
	v_pk_mul_f32 v[16:17], v[6:7], v[16:17] op_sel:[1,0]
	s_delay_alu instid0(VALU_DEP_1) | instskip(SKIP_1) | instid1(VALU_DEP_1)
	v_pk_fma_f32 v[16:17], v[2:3], v[6:7], v[16:17] op_sel_hi:[1,0,1]
	s_wait_loadcnt 0x0
	v_pk_fma_f32 v[16:17], v[4:5], v[14:15], v[16:17] op_sel_hi:[1,0,1]
	s_delay_alu instid0(VALU_DEP_1)
	v_pk_fma_f32 v[14:15], v[8:9], v[14:15], v[16:17] op_sel:[0,1,0]
	global_store_b64 v[10:11], v[14:15], off
.LBB31_40:
	s_and_not1_b32 vcc_lo, exec_lo, s3
                                        ; implicit-def: $vgpr9
                                        ; implicit-def: $vgpr14_vgpr15
	s_cbranch_vccnz .LBB31_42
; %bb.41:
	v_mul_u64_e32 v[0:1], s[0:1], v[0:1]
                                        ; implicit-def: $vgpr14_vgpr15
	v_mov_b32_e32 v9, v4
	s_delay_alu instid0(VALU_DEP_2) | instskip(SKIP_4) | instid1(VALU_DEP_1)
	v_lshl_add_u64 v[0:1], v[0:1], 3, v[12:13]
	v_xor_b32_e32 v12, 0x80000000, v3
	v_mov_b32_e32 v13, v2
	global_load_b64 v[10:11], v[0:1], off
	v_pk_mul_f32 v[12:13], v[6:7], v[12:13] op_sel:[1,0]
	v_pk_fma_f32 v[2:3], v[2:3], v[6:7], v[12:13] op_sel_hi:[1,0,1]
                                        ; implicit-def: $vgpr12_vgpr13
                                        ; implicit-def: $vgpr6_vgpr7
	s_wait_loadcnt 0x0
	s_delay_alu instid0(VALU_DEP_1) | instskip(NEXT) | instid1(VALU_DEP_1)
	v_pk_fma_f32 v[2:3], v[4:5], v[10:11], v[2:3] op_sel_hi:[1,0,1]
	v_pk_fma_f32 v[2:3], v[8:9], v[10:11], v[2:3] op_sel:[0,1,0]
                                        ; implicit-def: $vgpr9
	global_store_b64 v[0:1], v[2:3], off
                                        ; implicit-def: $vgpr2_vgpr3
                                        ; implicit-def: $vgpr0
.LBB31_42:
	s_wait_xcnt 0x0
	s_and_not1_saveexec_b32 s2, s2
	s_cbranch_execz .LBB31_47
; %bb.43:
	v_xor_b32_e32 v4, 0x80000000, v3
	v_mov_b32_e32 v5, v2
	v_cmp_ne_u32_e32 vcc_lo, 1, v9
	s_mov_b32 s2, -1
	s_delay_alu instid0(VALU_DEP_2) | instskip(NEXT) | instid1(VALU_DEP_1)
	v_pk_mul_f32 v[4:5], v[6:7], v[4:5] op_sel:[1,0]
	v_pk_fma_f32 v[2:3], v[2:3], v[6:7], v[4:5] op_sel_hi:[1,0,1]
	s_cbranch_vccnz .LBB31_45
; %bb.44:
	v_lshl_add_u64 v[4:5], v[0:1], 3, v[14:15]
	s_mov_b32 s2, 0
	global_store_b64 v[4:5], v[2:3], off
.LBB31_45:
	s_and_not1_b32 vcc_lo, exec_lo, s2
	s_cbranch_vccnz .LBB31_47
; %bb.46:
	v_mul_u64_e32 v[0:1], s[0:1], v[0:1]
	s_delay_alu instid0(VALU_DEP_1)
	v_lshl_add_u64 v[0:1], v[0:1], 3, v[12:13]
	global_store_b64 v[0:1], v[2:3], off
.LBB31_47:
	s_endpgm
	.section	.rodata,"a",@progbits
	.p2align	6, 0x0
	.amdhsa_kernel _ZN9rocsparseL31bsrmm_large_blockdim_kernel_extILj32ELj32ELj2Eli21rocsparse_complex_numIfES2_S2_S2_EEvb20rocsparse_direction_T3_S4_llNS_24const_host_device_scalarIT7_EEPKT2_PKS4_PKT4_S4_PKT5_llS7_PT6_ll16rocsparse_order_21rocsparse_index_base_b
		.amdhsa_group_segment_fixed_size 24576
		.amdhsa_private_segment_fixed_size 0
		.amdhsa_kernarg_size 140
		.amdhsa_user_sgpr_count 2
		.amdhsa_user_sgpr_dispatch_ptr 0
		.amdhsa_user_sgpr_queue_ptr 0
		.amdhsa_user_sgpr_kernarg_segment_ptr 1
		.amdhsa_user_sgpr_dispatch_id 0
		.amdhsa_user_sgpr_kernarg_preload_length 0
		.amdhsa_user_sgpr_kernarg_preload_offset 0
		.amdhsa_user_sgpr_private_segment_size 0
		.amdhsa_wavefront_size32 1
		.amdhsa_uses_dynamic_stack 0
		.amdhsa_enable_private_segment 0
		.amdhsa_system_sgpr_workgroup_id_x 1
		.amdhsa_system_sgpr_workgroup_id_y 1
		.amdhsa_system_sgpr_workgroup_id_z 0
		.amdhsa_system_sgpr_workgroup_info 0
		.amdhsa_system_vgpr_workitem_id 1
		.amdhsa_next_free_vgpr 32
		.amdhsa_next_free_sgpr 32
		.amdhsa_named_barrier_count 0
		.amdhsa_reserve_vcc 1
		.amdhsa_float_round_mode_32 0
		.amdhsa_float_round_mode_16_64 0
		.amdhsa_float_denorm_mode_32 3
		.amdhsa_float_denorm_mode_16_64 3
		.amdhsa_fp16_overflow 0
		.amdhsa_memory_ordered 1
		.amdhsa_forward_progress 1
		.amdhsa_inst_pref_size 17
		.amdhsa_round_robin_scheduling 0
		.amdhsa_exception_fp_ieee_invalid_op 0
		.amdhsa_exception_fp_denorm_src 0
		.amdhsa_exception_fp_ieee_div_zero 0
		.amdhsa_exception_fp_ieee_overflow 0
		.amdhsa_exception_fp_ieee_underflow 0
		.amdhsa_exception_fp_ieee_inexact 0
		.amdhsa_exception_int_div_zero 0
	.end_amdhsa_kernel
	.section	.text._ZN9rocsparseL31bsrmm_large_blockdim_kernel_extILj32ELj32ELj2Eli21rocsparse_complex_numIfES2_S2_S2_EEvb20rocsparse_direction_T3_S4_llNS_24const_host_device_scalarIT7_EEPKT2_PKS4_PKT4_S4_PKT5_llS7_PT6_ll16rocsparse_order_21rocsparse_index_base_b,"axG",@progbits,_ZN9rocsparseL31bsrmm_large_blockdim_kernel_extILj32ELj32ELj2Eli21rocsparse_complex_numIfES2_S2_S2_EEvb20rocsparse_direction_T3_S4_llNS_24const_host_device_scalarIT7_EEPKT2_PKS4_PKT4_S4_PKT5_llS7_PT6_ll16rocsparse_order_21rocsparse_index_base_b,comdat
.Lfunc_end31:
	.size	_ZN9rocsparseL31bsrmm_large_blockdim_kernel_extILj32ELj32ELj2Eli21rocsparse_complex_numIfES2_S2_S2_EEvb20rocsparse_direction_T3_S4_llNS_24const_host_device_scalarIT7_EEPKT2_PKS4_PKT4_S4_PKT5_llS7_PT6_ll16rocsparse_order_21rocsparse_index_base_b, .Lfunc_end31-_ZN9rocsparseL31bsrmm_large_blockdim_kernel_extILj32ELj32ELj2Eli21rocsparse_complex_numIfES2_S2_S2_EEvb20rocsparse_direction_T3_S4_llNS_24const_host_device_scalarIT7_EEPKT2_PKS4_PKT4_S4_PKT5_llS7_PT6_ll16rocsparse_order_21rocsparse_index_base_b
                                        ; -- End function
	.set _ZN9rocsparseL31bsrmm_large_blockdim_kernel_extILj32ELj32ELj2Eli21rocsparse_complex_numIfES2_S2_S2_EEvb20rocsparse_direction_T3_S4_llNS_24const_host_device_scalarIT7_EEPKT2_PKS4_PKT4_S4_PKT5_llS7_PT6_ll16rocsparse_order_21rocsparse_index_base_b.num_vgpr, 32
	.set _ZN9rocsparseL31bsrmm_large_blockdim_kernel_extILj32ELj32ELj2Eli21rocsparse_complex_numIfES2_S2_S2_EEvb20rocsparse_direction_T3_S4_llNS_24const_host_device_scalarIT7_EEPKT2_PKS4_PKT4_S4_PKT5_llS7_PT6_ll16rocsparse_order_21rocsparse_index_base_b.num_agpr, 0
	.set _ZN9rocsparseL31bsrmm_large_blockdim_kernel_extILj32ELj32ELj2Eli21rocsparse_complex_numIfES2_S2_S2_EEvb20rocsparse_direction_T3_S4_llNS_24const_host_device_scalarIT7_EEPKT2_PKS4_PKT4_S4_PKT5_llS7_PT6_ll16rocsparse_order_21rocsparse_index_base_b.numbered_sgpr, 32
	.set _ZN9rocsparseL31bsrmm_large_blockdim_kernel_extILj32ELj32ELj2Eli21rocsparse_complex_numIfES2_S2_S2_EEvb20rocsparse_direction_T3_S4_llNS_24const_host_device_scalarIT7_EEPKT2_PKS4_PKT4_S4_PKT5_llS7_PT6_ll16rocsparse_order_21rocsparse_index_base_b.num_named_barrier, 0
	.set _ZN9rocsparseL31bsrmm_large_blockdim_kernel_extILj32ELj32ELj2Eli21rocsparse_complex_numIfES2_S2_S2_EEvb20rocsparse_direction_T3_S4_llNS_24const_host_device_scalarIT7_EEPKT2_PKS4_PKT4_S4_PKT5_llS7_PT6_ll16rocsparse_order_21rocsparse_index_base_b.private_seg_size, 0
	.set _ZN9rocsparseL31bsrmm_large_blockdim_kernel_extILj32ELj32ELj2Eli21rocsparse_complex_numIfES2_S2_S2_EEvb20rocsparse_direction_T3_S4_llNS_24const_host_device_scalarIT7_EEPKT2_PKS4_PKT4_S4_PKT5_llS7_PT6_ll16rocsparse_order_21rocsparse_index_base_b.uses_vcc, 1
	.set _ZN9rocsparseL31bsrmm_large_blockdim_kernel_extILj32ELj32ELj2Eli21rocsparse_complex_numIfES2_S2_S2_EEvb20rocsparse_direction_T3_S4_llNS_24const_host_device_scalarIT7_EEPKT2_PKS4_PKT4_S4_PKT5_llS7_PT6_ll16rocsparse_order_21rocsparse_index_base_b.uses_flat_scratch, 1
	.set _ZN9rocsparseL31bsrmm_large_blockdim_kernel_extILj32ELj32ELj2Eli21rocsparse_complex_numIfES2_S2_S2_EEvb20rocsparse_direction_T3_S4_llNS_24const_host_device_scalarIT7_EEPKT2_PKS4_PKT4_S4_PKT5_llS7_PT6_ll16rocsparse_order_21rocsparse_index_base_b.has_dyn_sized_stack, 0
	.set _ZN9rocsparseL31bsrmm_large_blockdim_kernel_extILj32ELj32ELj2Eli21rocsparse_complex_numIfES2_S2_S2_EEvb20rocsparse_direction_T3_S4_llNS_24const_host_device_scalarIT7_EEPKT2_PKS4_PKT4_S4_PKT5_llS7_PT6_ll16rocsparse_order_21rocsparse_index_base_b.has_recursion, 0
	.set _ZN9rocsparseL31bsrmm_large_blockdim_kernel_extILj32ELj32ELj2Eli21rocsparse_complex_numIfES2_S2_S2_EEvb20rocsparse_direction_T3_S4_llNS_24const_host_device_scalarIT7_EEPKT2_PKS4_PKT4_S4_PKT5_llS7_PT6_ll16rocsparse_order_21rocsparse_index_base_b.has_indirect_call, 0
	.section	.AMDGPU.csdata,"",@progbits
; Kernel info:
; codeLenInByte = 2076
; TotalNumSgprs: 34
; NumVgprs: 32
; ScratchSize: 0
; MemoryBound: 0
; FloatMode: 240
; IeeeMode: 1
; LDSByteSize: 24576 bytes/workgroup (compile time only)
; SGPRBlocks: 0
; VGPRBlocks: 1
; NumSGPRsForWavesPerEU: 34
; NumVGPRsForWavesPerEU: 32
; NamedBarCnt: 0
; Occupancy: 16
; WaveLimiterHint : 1
; COMPUTE_PGM_RSRC2:SCRATCH_EN: 0
; COMPUTE_PGM_RSRC2:USER_SGPR: 2
; COMPUTE_PGM_RSRC2:TRAP_HANDLER: 0
; COMPUTE_PGM_RSRC2:TGID_X_EN: 1
; COMPUTE_PGM_RSRC2:TGID_Y_EN: 1
; COMPUTE_PGM_RSRC2:TGID_Z_EN: 0
; COMPUTE_PGM_RSRC2:TIDIG_COMP_CNT: 1
	.section	.text._ZN9rocsparseL31bsrmm_large_blockdim_kernel_extILj8ELj8ELj2Ell21rocsparse_complex_numIfES2_S2_S2_EEvb20rocsparse_direction_T3_S4_llNS_24const_host_device_scalarIT7_EEPKT2_PKS4_PKT4_S4_PKT5_llS7_PT6_ll16rocsparse_order_21rocsparse_index_base_b,"axG",@progbits,_ZN9rocsparseL31bsrmm_large_blockdim_kernel_extILj8ELj8ELj2Ell21rocsparse_complex_numIfES2_S2_S2_EEvb20rocsparse_direction_T3_S4_llNS_24const_host_device_scalarIT7_EEPKT2_PKS4_PKT4_S4_PKT5_llS7_PT6_ll16rocsparse_order_21rocsparse_index_base_b,comdat
	.globl	_ZN9rocsparseL31bsrmm_large_blockdim_kernel_extILj8ELj8ELj2Ell21rocsparse_complex_numIfES2_S2_S2_EEvb20rocsparse_direction_T3_S4_llNS_24const_host_device_scalarIT7_EEPKT2_PKS4_PKT4_S4_PKT5_llS7_PT6_ll16rocsparse_order_21rocsparse_index_base_b ; -- Begin function _ZN9rocsparseL31bsrmm_large_blockdim_kernel_extILj8ELj8ELj2Ell21rocsparse_complex_numIfES2_S2_S2_EEvb20rocsparse_direction_T3_S4_llNS_24const_host_device_scalarIT7_EEPKT2_PKS4_PKT4_S4_PKT5_llS7_PT6_ll16rocsparse_order_21rocsparse_index_base_b
	.p2align	8
	.type	_ZN9rocsparseL31bsrmm_large_blockdim_kernel_extILj8ELj8ELj2Ell21rocsparse_complex_numIfES2_S2_S2_EEvb20rocsparse_direction_T3_S4_llNS_24const_host_device_scalarIT7_EEPKT2_PKS4_PKT4_S4_PKT5_llS7_PT6_ll16rocsparse_order_21rocsparse_index_base_b,@function
_ZN9rocsparseL31bsrmm_large_blockdim_kernel_extILj8ELj8ELj2Ell21rocsparse_complex_numIfES2_S2_S2_EEvb20rocsparse_direction_T3_S4_llNS_24const_host_device_scalarIT7_EEPKT2_PKS4_PKT4_S4_PKT5_llS7_PT6_ll16rocsparse_order_21rocsparse_index_base_b: ; @_ZN9rocsparseL31bsrmm_large_blockdim_kernel_extILj8ELj8ELj2Ell21rocsparse_complex_numIfES2_S2_S2_EEvb20rocsparse_direction_T3_S4_llNS_24const_host_device_scalarIT7_EEPKT2_PKS4_PKT4_S4_PKT5_llS7_PT6_ll16rocsparse_order_21rocsparse_index_base_b
; %bb.0:
	s_clause 0x2
	s_load_b96 s[20:22], s[0:1], 0x88
	s_load_b64 s[2:3], s[0:1], 0x28
	s_load_b64 s[4:5], s[0:1], 0x68
	v_mov_b32_e32 v1, 0
	s_add_nc_u64 s[6:7], s[0:1], 40
	s_add_nc_u64 s[8:9], s[0:1], 0x68
	s_wait_kmcnt 0x0
	s_bitcmp1_b32 s22, 0
	s_cselect_b32 s3, s7, s3
	s_cselect_b32 s2, s6, s2
	s_cselect_b32 s5, s9, s5
	s_cselect_b32 s4, s8, s4
	s_clause 0x1
	flat_load_b64 v[2:3], v1, s[2:3]
	flat_load_b64 v[4:5], v1, s[4:5]
	s_wait_loadcnt_dscnt 0x101
	v_cmp_eq_f32_e32 vcc_lo, 0, v2
	v_cmp_eq_f32_e64 s3, 0, v3
	s_wait_loadcnt_dscnt 0x0
	v_cmp_eq_f32_e64 s4, 1.0, v4
	v_cmp_eq_f32_e64 s2, 0, v5
	s_and_b32 s3, vcc_lo, s3
	s_and_b32 s4, s4, s2
	s_delay_alu instid0(SALU_CYCLE_1) | instskip(NEXT) | instid1(SALU_CYCLE_1)
	s_and_b32 s3, s3, s4
	s_xor_b32 s3, s3, -1
	s_delay_alu instid0(SALU_CYCLE_1)
	s_and_saveexec_b32 s4, s3
	s_cbranch_execz .LBB32_47
; %bb.1:
	s_clause 0x1
	s_load_b128 s[8:11], s[0:1], 0x8
	s_load_b64 s[4:5], s[0:1], 0x30
	s_bfe_u32 s3, ttmp6, 0x4000c
	s_and_b32 s6, ttmp6, 15
	s_add_co_i32 s3, s3, 1
	s_mov_b64 s[24:25], 0
	s_mul_i32 s7, ttmp9, s3
	s_getreg_b32 s3, hwreg(HW_REG_IB_STS2, 6, 4)
	s_add_co_i32 s6, s6, s7
	s_cmp_eq_u32 s3, 0
	s_cselect_b32 s22, ttmp9, s6
	s_delay_alu instid0(SALU_CYCLE_1)
	s_ashr_i32 s23, s22, 31
	s_wait_kmcnt 0x0
	v_cmp_le_i64_e64 s6, s[8:9], s[22:23]
	v_cmp_gt_i64_e64 s7, s[8:9], s[22:23]
	s_mov_b64 s[8:9], 0
	s_and_b32 vcc_lo, exec_lo, s6
	s_cbranch_vccnz .LBB32_3
; %bb.2:
	s_lshl_b64 s[12:13], s[22:23], 3
	s_mov_b32 s15, 0
	s_add_nc_u64 s[12:13], s[4:5], s[12:13]
	s_mov_b32 s14, s21
	s_load_b64 s[12:13], s[12:13], 0x0
	s_wait_kmcnt 0x0
	s_sub_nc_u64 s[24:25], s[12:13], s[14:15]
.LBB32_3:
	s_and_not1_b32 vcc_lo, exec_lo, s7
	s_cbranch_vccnz .LBB32_5
; %bb.4:
	s_lshl_b64 s[8:9], s[22:23], 3
	s_delay_alu instid0(SALU_CYCLE_1)
	s_add_nc_u64 s[4:5], s[4:5], s[8:9]
	s_mov_b32 s9, 0
	s_load_b64 s[4:5], s[4:5], 0x8
	s_mov_b32 s8, s21
	s_wait_kmcnt 0x0
	s_sub_nc_u64 s[8:9], s[4:5], s[8:9]
.LBB32_5:
	s_bfe_u32 s4, ttmp6, 0x40010
	s_clause 0x1
	s_load_b64 s[28:29], s[0:1], 0x48
	s_load_b64 s[26:27], s[0:1], 0x70
	s_add_co_i32 s4, s4, 1
	s_bfe_u32 s5, ttmp6, 0x40004
	s_mul_i32 s4, ttmp7, s4
	v_bfe_u32 v10, v0, 10, 10
	s_add_co_i32 s5, s5, s4
	s_cmp_eq_u32 s3, 0
	v_and_b32_e32 v12, 0x3ff, v0
	s_cselect_b32 s3, ttmp7, s5
	v_cmp_ge_i64_e64 s6, s[24:25], s[8:9]
	v_lshl_add_u32 v8, s3, 4, v10
	v_mov_b32_e32 v9, 0
	s_mov_b32 s31, 0
	s_delay_alu instid0(VALU_DEP_1)
	v_dual_mov_b32 v13, v9 :: v_dual_add_nc_u32 v0, 8, v8
	v_mov_b32_e32 v1, v9
	v_cmp_gt_i64_e64 s4, s[10:11], v[8:9]
	s_and_b32 vcc_lo, exec_lo, s6
	s_wait_kmcnt 0x0
	v_cmp_gt_i64_e64 s3, s[28:29], v[12:13]
	v_cmp_gt_i64_e64 s5, s[10:11], v[0:1]
	s_cbranch_vccnz .LBB32_23
; %bb.6:
	v_dual_mov_b32 v11, v9 :: v_dual_lshlrev_b32 v22, 3, v10
	s_load_b128 s[12:15], s[0:1], 0x50
	v_mul_u64_e32 v[18:19], s[28:29], v[12:13]
	s_clause 0x1
	s_load_b128 s[16:19], s[0:1], 0x38
	s_load_b64 s[36:37], s[0:1], 0x0
	v_mul_u64_e32 v[20:21], s[28:29], v[10:11]
	v_cmp_gt_i64_e32 vcc_lo, s[28:29], v[10:11]
	v_dual_mov_b32 v25, v9 :: v_dual_lshlrev_b32 v24, 3, v12
	v_dual_lshlrev_b32 v26, 6, v10 :: v_dual_lshlrev_b32 v30, 6, v12
	v_mov_b32_e32 v23, v9
	v_cmp_gt_i64_e64 s33, s[28:29], 0
	s_and_b32 s23, s3, vcc_lo
	v_add_nc_u32_e32 v28, 0x200, v26
	v_mov_b64_e32 v[6:7], 0
	v_mov_b64_e32 v[10:11], 0
	v_add_nc_u32_e32 v27, 0x400, v30
	s_mul_u64 s[34:35], s[28:29], s[28:29]
	s_mov_b32 s30, s21
	s_wait_kmcnt 0x0
	v_mul_u64_e32 v[14:15], s[14:15], v[8:9]
	v_mul_u64_e32 v[16:17], s[14:15], v[0:1]
	s_bitcmp1_b32 s36, 0
	s_cselect_b32 s6, -1, 0
	s_cmp_eq_u32 s37, 0
	s_cselect_b32 vcc_lo, -1, 0
	s_and_b32 s21, s4, s33
	s_and_b32 s33, s5, s33
	v_lshl_add_u64 v[18:19], v[18:19], 3, s[18:19]
	v_lshl_add_u64 v[20:21], v[20:21], 3, s[18:19]
	s_delay_alu instid0(VALU_DEP_1) | instskip(SKIP_1) | instid1(VALU_DEP_4)
	v_add_nc_u64_e32 v[20:21], v[20:21], v[24:25]
	v_add_nc_u32_e32 v31, 0x400, v22
	v_add_nc_u64_e32 v[22:23], v[18:19], v[22:23]
	v_add_nc_u64_e32 v[18:19], s[12:13], v[24:25]
	s_delay_alu instid0(VALU_DEP_2) | instskip(NEXT) | instid1(VALU_DEP_3)
	v_dual_add_nc_u32 v29, v24, v26 :: v_dual_cndmask_b32 v21, v21, v23, vcc_lo
	v_cndmask_b32_e32 v20, v20, v22, vcc_lo
	v_add_nc_u32_e32 v30, v31, v30
	s_branch .LBB32_9
.LBB32_7:                               ;   in Loop: Header=BB32_9 Depth=1
	s_or_b32 exec_lo, exec_lo, s37
.LBB32_8:                               ;   in Loop: Header=BB32_9 Depth=1
	s_delay_alu instid0(SALU_CYCLE_1) | instskip(SKIP_1) | instid1(SALU_CYCLE_1)
	s_or_b32 exec_lo, exec_lo, s36
	s_add_nc_u64 s[24:25], s[24:25], 1
	v_cmp_ge_i64_e64 s18, s[24:25], s[8:9]
	s_barrier_signal -1
	s_barrier_wait -1
	s_and_b32 vcc_lo, exec_lo, s18
	s_cbranch_vccnz .LBB32_24
.LBB32_9:                               ; =>This Loop Header: Depth=1
                                        ;     Child Loop BB32_19 Depth 2
                                        ;     Child Loop BB32_22 Depth 2
	s_and_saveexec_b32 s18, s3
	s_cbranch_execz .LBB32_14
; %bb.10:                               ;   in Loop: Header=BB32_9 Depth=1
	s_lshl_b64 s[36:37], s[24:25], 3
	s_delay_alu instid0(SALU_CYCLE_1) | instskip(SKIP_3) | instid1(SALU_CYCLE_1)
	s_add_nc_u64 s[36:37], s[16:17], s[36:37]
	s_load_b64 s[36:37], s[36:37], 0x0
	s_wait_kmcnt 0x0
	s_sub_nc_u64 s[36:37], s[36:37], s[30:31]
	s_mul_u64 s[36:37], s[36:37], s[28:29]
	s_delay_alu instid0(SALU_CYCLE_1) | instskip(SKIP_1) | instid1(VALU_DEP_2)
	v_add_nc_u64_e32 v[22:23], s[36:37], v[12:13]
	v_lshl_add_u64 v[24:25], s[36:37], 3, v[18:19]
	v_mul_u64_e32 v[22:23], s[14:15], v[22:23]
	s_delay_alu instid0(VALU_DEP_1)
	v_lshl_add_u64 v[22:23], v[22:23], 3, s[12:13]
	s_and_saveexec_b32 s19, s4
	s_cbranch_execz .LBB32_12
; %bb.11:                               ;   in Loop: Header=BB32_9 Depth=1
	s_delay_alu instid0(VALU_DEP_1) | instskip(SKIP_1) | instid1(VALU_DEP_1)
	v_lshl_add_u64 v[32:33], v[8:9], 3, v[22:23]
	v_lshl_add_u64 v[34:35], v[14:15], 3, v[24:25]
	v_dual_cndmask_b32 v33, v33, v35, s6 :: v_dual_cndmask_b32 v32, v32, v34, s6
	global_load_b64 v[32:33], v[32:33], off
	s_wait_loadcnt 0x0
	ds_store_b64 v29, v[32:33]
.LBB32_12:                              ;   in Loop: Header=BB32_9 Depth=1
	s_or_b32 exec_lo, exec_lo, s19
	s_delay_alu instid0(SALU_CYCLE_1)
	s_and_b32 exec_lo, exec_lo, s5
	s_cbranch_execz .LBB32_14
; %bb.13:                               ;   in Loop: Header=BB32_9 Depth=1
	v_lshl_add_u64 v[24:25], v[16:17], 3, v[24:25]
	v_lshl_add_u64 v[22:23], v[0:1], 3, v[22:23]
	s_delay_alu instid0(VALU_DEP_1)
	v_dual_cndmask_b32 v23, v23, v25, s6 :: v_dual_cndmask_b32 v22, v22, v24, s6
	global_load_b64 v[22:23], v[22:23], off
	s_wait_loadcnt 0x0
	ds_store_b64 v29, v[22:23] offset:512
.LBB32_14:                              ;   in Loop: Header=BB32_9 Depth=1
	s_or_b32 exec_lo, exec_lo, s18
	s_and_saveexec_b32 s18, s23
	s_cbranch_execz .LBB32_16
; %bb.15:                               ;   in Loop: Header=BB32_9 Depth=1
	s_mul_u64 s[36:37], s[34:35], s[24:25]
	s_delay_alu instid0(SALU_CYCLE_1)
	v_lshl_add_u64 v[22:23], s[36:37], 3, v[20:21]
	global_load_b64 v[22:23], v[22:23], off
	s_wait_loadcnt 0x0
	ds_store_b64 v30, v[22:23]
.LBB32_16:                              ;   in Loop: Header=BB32_9 Depth=1
	s_or_b32 exec_lo, exec_lo, s18
	s_wait_dscnt 0x0
	s_barrier_signal -1
	s_barrier_wait -1
	s_and_saveexec_b32 s36, s3
	s_cbranch_execz .LBB32_8
; %bb.17:                               ;   in Loop: Header=BB32_9 Depth=1
	s_and_saveexec_b32 s37, s21
	s_cbranch_execz .LBB32_20
; %bb.18:                               ;   in Loop: Header=BB32_9 Depth=1
	v_dual_mov_b32 v22, v27 :: v_dual_mov_b32 v23, v26
	s_mov_b64 s[18:19], s[28:29]
.LBB32_19:                              ;   Parent Loop BB32_9 Depth=1
                                        ; =>  This Inner Loop Header: Depth=2
	ds_load_b64 v[24:25], v23
	ds_load_b64 v[32:33], v22
	v_dual_add_nc_u32 v23, 8, v23 :: v_dual_add_nc_u32 v22, 8, v22
	s_add_nc_u64 s[18:19], s[18:19], -1
	s_delay_alu instid0(SALU_CYCLE_1) | instskip(SKIP_2) | instid1(VALU_DEP_1)
	s_cmp_lg_u64 s[18:19], 0
	s_wait_dscnt 0x0
	v_pk_fma_f32 v[10:11], v[32:33], v[24:25], v[10:11] op_sel_hi:[1,0,1]
	v_pk_fma_f32 v[10:11], v[32:33], v[24:25], v[10:11] op_sel:[1,1,0] op_sel_hi:[0,1,1] neg_lo:[1,0,0]
	s_cbranch_scc1 .LBB32_19
.LBB32_20:                              ;   in Loop: Header=BB32_9 Depth=1
	s_or_b32 exec_lo, exec_lo, s37
	s_and_saveexec_b32 s37, s33
	s_cbranch_execz .LBB32_7
; %bb.21:                               ;   in Loop: Header=BB32_9 Depth=1
	v_dual_mov_b32 v22, v27 :: v_dual_mov_b32 v23, v28
	s_mov_b64 s[18:19], s[28:29]
.LBB32_22:                              ;   Parent Loop BB32_9 Depth=1
                                        ; =>  This Inner Loop Header: Depth=2
	ds_load_b64 v[24:25], v23
	ds_load_b64 v[32:33], v22
	v_dual_add_nc_u32 v23, 8, v23 :: v_dual_add_nc_u32 v22, 8, v22
	s_add_nc_u64 s[18:19], s[18:19], -1
	s_delay_alu instid0(SALU_CYCLE_1) | instskip(SKIP_2) | instid1(VALU_DEP_1)
	s_cmp_lg_u64 s[18:19], 0
	s_wait_dscnt 0x0
	v_pk_fma_f32 v[6:7], v[32:33], v[24:25], v[6:7] op_sel_hi:[1,0,1]
	v_pk_fma_f32 v[6:7], v[32:33], v[24:25], v[6:7] op_sel:[1,1,0] op_sel_hi:[0,1,1] neg_lo:[1,0,0]
	s_cbranch_scc1 .LBB32_22
	s_branch .LBB32_7
.LBB32_23:
	v_mov_b64_e32 v[10:11], 0
	v_mov_b64_e32 v[6:7], 0
.LBB32_24:
	s_and_b32 s3, s7, s3
	s_delay_alu instid0(SALU_CYCLE_1)
	s_and_b32 exec_lo, exec_lo, s3
	s_cbranch_execz .LBB32_47
; %bb.25:
	v_mad_nc_u64_u32 v[12:13], s28, s22, v[12:13]
	s_load_b64 s[4:5], s[0:1], 0x78
	v_cmp_neq_f32_e32 vcc_lo, 0, v4
	s_wait_xcnt 0x0
	s_xor_b32 s1, s2, -1
	s_mov_b32 s3, exec_lo
	s_or_b32 s1, vcc_lo, s1
	s_cmp_lg_u32 s20, 1
	s_cselect_b32 s2, -1, 0
	s_delay_alu instid0(VALU_DEP_2) | instskip(SKIP_1) | instid1(VALU_DEP_1)
	v_mad_u32 v13, s29, s22, v13
	s_wait_kmcnt 0x0
	v_mul_u64_e32 v[14:15], s[4:5], v[12:13]
	v_lshl_add_u64 v[12:13], v[12:13], 3, s[26:27]
	s_delay_alu instid0(VALU_DEP_2)
	v_lshl_add_u64 v[14:15], v[14:15], 3, s[26:27]
	v_cmpx_gt_i64_e64 s[10:11], v[8:9]
	s_cbranch_execz .LBB32_36
; %bb.26:
	s_and_saveexec_b32 s0, s1
	s_delay_alu instid0(SALU_CYCLE_1)
	s_xor_b32 s0, exec_lo, s0
	s_cbranch_execz .LBB32_31
; %bb.27:
	s_and_b32 vcc_lo, exec_lo, s2
	s_mov_b32 s6, -1
	s_cbranch_vccz .LBB32_29
; %bb.28:
	v_lshl_add_u64 v[16:17], v[8:9], 3, v[14:15]
	v_xor_b32_e32 v20, 0x80000000, v3
	v_dual_mov_b32 v21, v2 :: v_dual_mov_b32 v23, v4
	v_xor_b32_e32 v22, 0x80000000, v5
	global_load_b64 v[18:19], v[16:17], off
	s_mov_b32 s6, 0
	v_pk_mul_f32 v[20:21], v[10:11], v[20:21] op_sel:[1,0]
	s_delay_alu instid0(VALU_DEP_1) | instskip(SKIP_1) | instid1(VALU_DEP_1)
	v_pk_fma_f32 v[20:21], v[2:3], v[10:11], v[20:21] op_sel_hi:[1,0,1]
	s_wait_loadcnt 0x0
	v_pk_fma_f32 v[20:21], v[4:5], v[18:19], v[20:21] op_sel_hi:[1,0,1]
	s_delay_alu instid0(VALU_DEP_1)
	v_pk_fma_f32 v[18:19], v[22:23], v[18:19], v[20:21] op_sel:[0,1,0]
	global_store_b64 v[16:17], v[18:19], off
.LBB32_29:
	s_and_not1_b32 vcc_lo, exec_lo, s6
	s_cbranch_vccnz .LBB32_31
; %bb.30:
	v_mul_u64_e32 v[8:9], s[4:5], v[8:9]
	s_wait_xcnt 0x0
	v_xor_b32_e32 v18, 0x80000000, v3
	v_mov_b32_e32 v19, v2
	s_delay_alu instid0(VALU_DEP_1) | instskip(NEXT) | instid1(VALU_DEP_1)
	v_pk_mul_f32 v[18:19], v[10:11], v[18:19] op_sel:[1,0]
	v_pk_fma_f32 v[10:11], v[2:3], v[10:11], v[18:19] op_sel_hi:[1,0,1]
	v_xor_b32_e32 v18, 0x80000000, v5
	v_mov_b32_e32 v19, v4
	v_lshl_add_u64 v[8:9], v[8:9], 3, v[12:13]
	global_load_b64 v[16:17], v[8:9], off
	s_wait_loadcnt 0x0
	v_pk_fma_f32 v[10:11], v[4:5], v[16:17], v[10:11] op_sel_hi:[1,0,1]
	s_delay_alu instid0(VALU_DEP_1)
	v_pk_fma_f32 v[10:11], v[18:19], v[16:17], v[10:11] op_sel:[0,1,0]
	global_store_b64 v[8:9], v[10:11], off
                                        ; implicit-def: $vgpr8_vgpr9
                                        ; implicit-def: $vgpr10_vgpr11
.LBB32_31:
	s_wait_xcnt 0x0
	s_and_not1_saveexec_b32 s0, s0
	s_cbranch_execz .LBB32_36
; %bb.32:
	v_xor_b32_e32 v16, 0x80000000, v3
	v_mov_b32_e32 v17, v2
	s_and_b32 vcc_lo, exec_lo, s2
	s_mov_b32 s0, -1
	s_delay_alu instid0(VALU_DEP_1) | instskip(NEXT) | instid1(VALU_DEP_1)
	v_pk_mul_f32 v[16:17], v[10:11], v[16:17] op_sel:[1,0]
	v_pk_fma_f32 v[10:11], v[2:3], v[10:11], v[16:17] op_sel_hi:[1,0,1]
	s_cbranch_vccz .LBB32_34
; %bb.33:
	v_lshl_add_u64 v[16:17], v[8:9], 3, v[14:15]
	s_mov_b32 s0, 0
	global_store_b64 v[16:17], v[10:11], off
.LBB32_34:
	s_and_not1_b32 vcc_lo, exec_lo, s0
	s_cbranch_vccnz .LBB32_36
; %bb.35:
	v_mul_u64_e32 v[8:9], s[4:5], v[8:9]
	s_delay_alu instid0(VALU_DEP_1)
	v_lshl_add_u64 v[8:9], v[8:9], 3, v[12:13]
	global_store_b64 v[8:9], v[10:11], off
.LBB32_36:
	s_wait_xcnt 0x0
	s_or_b32 exec_lo, exec_lo, s3
	v_cmp_gt_i64_e32 vcc_lo, s[10:11], v[0:1]
	s_and_b32 exec_lo, exec_lo, vcc_lo
	s_cbranch_execz .LBB32_47
; %bb.37:
	v_cndmask_b32_e64 v9, 0, 1, s2
	s_and_saveexec_b32 s0, s1
	s_delay_alu instid0(SALU_CYCLE_1)
	s_xor_b32 s0, exec_lo, s0
	s_cbranch_execz .LBB32_42
; %bb.38:
	s_delay_alu instid0(VALU_DEP_1)
	v_cmp_ne_u32_e32 vcc_lo, 1, v9
	v_xor_b32_e32 v8, 0x80000000, v5
	s_mov_b32 s1, -1
	s_cbranch_vccnz .LBB32_40
; %bb.39:
	v_lshl_add_u64 v[10:11], v[0:1], 3, v[14:15]
	v_xor_b32_e32 v16, 0x80000000, v3
	v_dual_mov_b32 v17, v2 :: v_dual_mov_b32 v9, v4
	s_mov_b32 s1, 0
	global_load_b64 v[14:15], v[10:11], off
	v_pk_mul_f32 v[16:17], v[6:7], v[16:17] op_sel:[1,0]
	s_delay_alu instid0(VALU_DEP_1) | instskip(SKIP_1) | instid1(VALU_DEP_1)
	v_pk_fma_f32 v[16:17], v[2:3], v[6:7], v[16:17] op_sel_hi:[1,0,1]
	s_wait_loadcnt 0x0
	v_pk_fma_f32 v[16:17], v[4:5], v[14:15], v[16:17] op_sel_hi:[1,0,1]
	s_delay_alu instid0(VALU_DEP_1)
	v_pk_fma_f32 v[14:15], v[8:9], v[14:15], v[16:17] op_sel:[0,1,0]
	global_store_b64 v[10:11], v[14:15], off
.LBB32_40:
	s_and_not1_b32 vcc_lo, exec_lo, s1
                                        ; implicit-def: $vgpr9
                                        ; implicit-def: $vgpr14_vgpr15
	s_cbranch_vccnz .LBB32_42
; %bb.41:
	v_mul_u64_e32 v[0:1], s[4:5], v[0:1]
                                        ; implicit-def: $vgpr14_vgpr15
	v_mov_b32_e32 v9, v4
	s_delay_alu instid0(VALU_DEP_2) | instskip(SKIP_4) | instid1(VALU_DEP_1)
	v_lshl_add_u64 v[0:1], v[0:1], 3, v[12:13]
	v_xor_b32_e32 v12, 0x80000000, v3
	v_mov_b32_e32 v13, v2
	global_load_b64 v[10:11], v[0:1], off
	v_pk_mul_f32 v[12:13], v[6:7], v[12:13] op_sel:[1,0]
	v_pk_fma_f32 v[2:3], v[2:3], v[6:7], v[12:13] op_sel_hi:[1,0,1]
                                        ; implicit-def: $vgpr12_vgpr13
                                        ; implicit-def: $vgpr6_vgpr7
	s_wait_loadcnt 0x0
	s_delay_alu instid0(VALU_DEP_1) | instskip(NEXT) | instid1(VALU_DEP_1)
	v_pk_fma_f32 v[2:3], v[4:5], v[10:11], v[2:3] op_sel_hi:[1,0,1]
	v_pk_fma_f32 v[2:3], v[8:9], v[10:11], v[2:3] op_sel:[0,1,0]
                                        ; implicit-def: $vgpr9
	global_store_b64 v[0:1], v[2:3], off
                                        ; implicit-def: $vgpr0_vgpr1
                                        ; implicit-def: $vgpr2_vgpr3
.LBB32_42:
	s_wait_xcnt 0x0
	s_and_not1_saveexec_b32 s0, s0
	s_cbranch_execz .LBB32_47
; %bb.43:
	v_xor_b32_e32 v4, 0x80000000, v3
	v_mov_b32_e32 v5, v2
	v_cmp_ne_u32_e32 vcc_lo, 1, v9
	s_mov_b32 s0, -1
	s_delay_alu instid0(VALU_DEP_2) | instskip(NEXT) | instid1(VALU_DEP_1)
	v_pk_mul_f32 v[4:5], v[6:7], v[4:5] op_sel:[1,0]
	v_pk_fma_f32 v[2:3], v[2:3], v[6:7], v[4:5] op_sel_hi:[1,0,1]
	s_cbranch_vccnz .LBB32_45
; %bb.44:
	v_lshl_add_u64 v[4:5], v[0:1], 3, v[14:15]
	s_mov_b32 s0, 0
	global_store_b64 v[4:5], v[2:3], off
.LBB32_45:
	s_and_not1_b32 vcc_lo, exec_lo, s0
	s_cbranch_vccnz .LBB32_47
; %bb.46:
	v_mul_u64_e32 v[0:1], s[4:5], v[0:1]
	s_delay_alu instid0(VALU_DEP_1)
	v_lshl_add_u64 v[0:1], v[0:1], 3, v[12:13]
	global_store_b64 v[0:1], v[2:3], off
.LBB32_47:
	s_endpgm
	.section	.rodata,"a",@progbits
	.p2align	6, 0x0
	.amdhsa_kernel _ZN9rocsparseL31bsrmm_large_blockdim_kernel_extILj8ELj8ELj2Ell21rocsparse_complex_numIfES2_S2_S2_EEvb20rocsparse_direction_T3_S4_llNS_24const_host_device_scalarIT7_EEPKT2_PKS4_PKT4_S4_PKT5_llS7_PT6_ll16rocsparse_order_21rocsparse_index_base_b
		.amdhsa_group_segment_fixed_size 1536
		.amdhsa_private_segment_fixed_size 0
		.amdhsa_kernarg_size 148
		.amdhsa_user_sgpr_count 2
		.amdhsa_user_sgpr_dispatch_ptr 0
		.amdhsa_user_sgpr_queue_ptr 0
		.amdhsa_user_sgpr_kernarg_segment_ptr 1
		.amdhsa_user_sgpr_dispatch_id 0
		.amdhsa_user_sgpr_kernarg_preload_length 0
		.amdhsa_user_sgpr_kernarg_preload_offset 0
		.amdhsa_user_sgpr_private_segment_size 0
		.amdhsa_wavefront_size32 1
		.amdhsa_uses_dynamic_stack 0
		.amdhsa_enable_private_segment 0
		.amdhsa_system_sgpr_workgroup_id_x 1
		.amdhsa_system_sgpr_workgroup_id_y 1
		.amdhsa_system_sgpr_workgroup_id_z 0
		.amdhsa_system_sgpr_workgroup_info 0
		.amdhsa_system_vgpr_workitem_id 1
		.amdhsa_next_free_vgpr 36
		.amdhsa_next_free_sgpr 38
		.amdhsa_named_barrier_count 0
		.amdhsa_reserve_vcc 1
		.amdhsa_float_round_mode_32 0
		.amdhsa_float_round_mode_16_64 0
		.amdhsa_float_denorm_mode_32 3
		.amdhsa_float_denorm_mode_16_64 3
		.amdhsa_fp16_overflow 0
		.amdhsa_memory_ordered 1
		.amdhsa_forward_progress 1
		.amdhsa_inst_pref_size 17
		.amdhsa_round_robin_scheduling 0
		.amdhsa_exception_fp_ieee_invalid_op 0
		.amdhsa_exception_fp_denorm_src 0
		.amdhsa_exception_fp_ieee_div_zero 0
		.amdhsa_exception_fp_ieee_overflow 0
		.amdhsa_exception_fp_ieee_underflow 0
		.amdhsa_exception_fp_ieee_inexact 0
		.amdhsa_exception_int_div_zero 0
	.end_amdhsa_kernel
	.section	.text._ZN9rocsparseL31bsrmm_large_blockdim_kernel_extILj8ELj8ELj2Ell21rocsparse_complex_numIfES2_S2_S2_EEvb20rocsparse_direction_T3_S4_llNS_24const_host_device_scalarIT7_EEPKT2_PKS4_PKT4_S4_PKT5_llS7_PT6_ll16rocsparse_order_21rocsparse_index_base_b,"axG",@progbits,_ZN9rocsparseL31bsrmm_large_blockdim_kernel_extILj8ELj8ELj2Ell21rocsparse_complex_numIfES2_S2_S2_EEvb20rocsparse_direction_T3_S4_llNS_24const_host_device_scalarIT7_EEPKT2_PKS4_PKT4_S4_PKT5_llS7_PT6_ll16rocsparse_order_21rocsparse_index_base_b,comdat
.Lfunc_end32:
	.size	_ZN9rocsparseL31bsrmm_large_blockdim_kernel_extILj8ELj8ELj2Ell21rocsparse_complex_numIfES2_S2_S2_EEvb20rocsparse_direction_T3_S4_llNS_24const_host_device_scalarIT7_EEPKT2_PKS4_PKT4_S4_PKT5_llS7_PT6_ll16rocsparse_order_21rocsparse_index_base_b, .Lfunc_end32-_ZN9rocsparseL31bsrmm_large_blockdim_kernel_extILj8ELj8ELj2Ell21rocsparse_complex_numIfES2_S2_S2_EEvb20rocsparse_direction_T3_S4_llNS_24const_host_device_scalarIT7_EEPKT2_PKS4_PKT4_S4_PKT5_llS7_PT6_ll16rocsparse_order_21rocsparse_index_base_b
                                        ; -- End function
	.set _ZN9rocsparseL31bsrmm_large_blockdim_kernel_extILj8ELj8ELj2Ell21rocsparse_complex_numIfES2_S2_S2_EEvb20rocsparse_direction_T3_S4_llNS_24const_host_device_scalarIT7_EEPKT2_PKS4_PKT4_S4_PKT5_llS7_PT6_ll16rocsparse_order_21rocsparse_index_base_b.num_vgpr, 36
	.set _ZN9rocsparseL31bsrmm_large_blockdim_kernel_extILj8ELj8ELj2Ell21rocsparse_complex_numIfES2_S2_S2_EEvb20rocsparse_direction_T3_S4_llNS_24const_host_device_scalarIT7_EEPKT2_PKS4_PKT4_S4_PKT5_llS7_PT6_ll16rocsparse_order_21rocsparse_index_base_b.num_agpr, 0
	.set _ZN9rocsparseL31bsrmm_large_blockdim_kernel_extILj8ELj8ELj2Ell21rocsparse_complex_numIfES2_S2_S2_EEvb20rocsparse_direction_T3_S4_llNS_24const_host_device_scalarIT7_EEPKT2_PKS4_PKT4_S4_PKT5_llS7_PT6_ll16rocsparse_order_21rocsparse_index_base_b.numbered_sgpr, 38
	.set _ZN9rocsparseL31bsrmm_large_blockdim_kernel_extILj8ELj8ELj2Ell21rocsparse_complex_numIfES2_S2_S2_EEvb20rocsparse_direction_T3_S4_llNS_24const_host_device_scalarIT7_EEPKT2_PKS4_PKT4_S4_PKT5_llS7_PT6_ll16rocsparse_order_21rocsparse_index_base_b.num_named_barrier, 0
	.set _ZN9rocsparseL31bsrmm_large_blockdim_kernel_extILj8ELj8ELj2Ell21rocsparse_complex_numIfES2_S2_S2_EEvb20rocsparse_direction_T3_S4_llNS_24const_host_device_scalarIT7_EEPKT2_PKS4_PKT4_S4_PKT5_llS7_PT6_ll16rocsparse_order_21rocsparse_index_base_b.private_seg_size, 0
	.set _ZN9rocsparseL31bsrmm_large_blockdim_kernel_extILj8ELj8ELj2Ell21rocsparse_complex_numIfES2_S2_S2_EEvb20rocsparse_direction_T3_S4_llNS_24const_host_device_scalarIT7_EEPKT2_PKS4_PKT4_S4_PKT5_llS7_PT6_ll16rocsparse_order_21rocsparse_index_base_b.uses_vcc, 1
	.set _ZN9rocsparseL31bsrmm_large_blockdim_kernel_extILj8ELj8ELj2Ell21rocsparse_complex_numIfES2_S2_S2_EEvb20rocsparse_direction_T3_S4_llNS_24const_host_device_scalarIT7_EEPKT2_PKS4_PKT4_S4_PKT5_llS7_PT6_ll16rocsparse_order_21rocsparse_index_base_b.uses_flat_scratch, 1
	.set _ZN9rocsparseL31bsrmm_large_blockdim_kernel_extILj8ELj8ELj2Ell21rocsparse_complex_numIfES2_S2_S2_EEvb20rocsparse_direction_T3_S4_llNS_24const_host_device_scalarIT7_EEPKT2_PKS4_PKT4_S4_PKT5_llS7_PT6_ll16rocsparse_order_21rocsparse_index_base_b.has_dyn_sized_stack, 0
	.set _ZN9rocsparseL31bsrmm_large_blockdim_kernel_extILj8ELj8ELj2Ell21rocsparse_complex_numIfES2_S2_S2_EEvb20rocsparse_direction_T3_S4_llNS_24const_host_device_scalarIT7_EEPKT2_PKS4_PKT4_S4_PKT5_llS7_PT6_ll16rocsparse_order_21rocsparse_index_base_b.has_recursion, 0
	.set _ZN9rocsparseL31bsrmm_large_blockdim_kernel_extILj8ELj8ELj2Ell21rocsparse_complex_numIfES2_S2_S2_EEvb20rocsparse_direction_T3_S4_llNS_24const_host_device_scalarIT7_EEPKT2_PKS4_PKT4_S4_PKT5_llS7_PT6_ll16rocsparse_order_21rocsparse_index_base_b.has_indirect_call, 0
	.section	.AMDGPU.csdata,"",@progbits
; Kernel info:
; codeLenInByte = 2088
; TotalNumSgprs: 40
; NumVgprs: 36
; ScratchSize: 0
; MemoryBound: 0
; FloatMode: 240
; IeeeMode: 1
; LDSByteSize: 1536 bytes/workgroup (compile time only)
; SGPRBlocks: 0
; VGPRBlocks: 2
; NumSGPRsForWavesPerEU: 40
; NumVGPRsForWavesPerEU: 36
; NamedBarCnt: 0
; Occupancy: 16
; WaveLimiterHint : 1
; COMPUTE_PGM_RSRC2:SCRATCH_EN: 0
; COMPUTE_PGM_RSRC2:USER_SGPR: 2
; COMPUTE_PGM_RSRC2:TRAP_HANDLER: 0
; COMPUTE_PGM_RSRC2:TGID_X_EN: 1
; COMPUTE_PGM_RSRC2:TGID_Y_EN: 1
; COMPUTE_PGM_RSRC2:TGID_Z_EN: 0
; COMPUTE_PGM_RSRC2:TIDIG_COMP_CNT: 1
	.section	.text._ZN9rocsparseL31bsrmm_large_blockdim_kernel_extILj4ELj16ELj2Ell21rocsparse_complex_numIfES2_S2_S2_EEvb20rocsparse_direction_T3_S4_llNS_24const_host_device_scalarIT7_EEPKT2_PKS4_PKT4_S4_PKT5_llS7_PT6_ll16rocsparse_order_21rocsparse_index_base_b,"axG",@progbits,_ZN9rocsparseL31bsrmm_large_blockdim_kernel_extILj4ELj16ELj2Ell21rocsparse_complex_numIfES2_S2_S2_EEvb20rocsparse_direction_T3_S4_llNS_24const_host_device_scalarIT7_EEPKT2_PKS4_PKT4_S4_PKT5_llS7_PT6_ll16rocsparse_order_21rocsparse_index_base_b,comdat
	.globl	_ZN9rocsparseL31bsrmm_large_blockdim_kernel_extILj4ELj16ELj2Ell21rocsparse_complex_numIfES2_S2_S2_EEvb20rocsparse_direction_T3_S4_llNS_24const_host_device_scalarIT7_EEPKT2_PKS4_PKT4_S4_PKT5_llS7_PT6_ll16rocsparse_order_21rocsparse_index_base_b ; -- Begin function _ZN9rocsparseL31bsrmm_large_blockdim_kernel_extILj4ELj16ELj2Ell21rocsparse_complex_numIfES2_S2_S2_EEvb20rocsparse_direction_T3_S4_llNS_24const_host_device_scalarIT7_EEPKT2_PKS4_PKT4_S4_PKT5_llS7_PT6_ll16rocsparse_order_21rocsparse_index_base_b
	.p2align	8
	.type	_ZN9rocsparseL31bsrmm_large_blockdim_kernel_extILj4ELj16ELj2Ell21rocsparse_complex_numIfES2_S2_S2_EEvb20rocsparse_direction_T3_S4_llNS_24const_host_device_scalarIT7_EEPKT2_PKS4_PKT4_S4_PKT5_llS7_PT6_ll16rocsparse_order_21rocsparse_index_base_b,@function
_ZN9rocsparseL31bsrmm_large_blockdim_kernel_extILj4ELj16ELj2Ell21rocsparse_complex_numIfES2_S2_S2_EEvb20rocsparse_direction_T3_S4_llNS_24const_host_device_scalarIT7_EEPKT2_PKS4_PKT4_S4_PKT5_llS7_PT6_ll16rocsparse_order_21rocsparse_index_base_b: ; @_ZN9rocsparseL31bsrmm_large_blockdim_kernel_extILj4ELj16ELj2Ell21rocsparse_complex_numIfES2_S2_S2_EEvb20rocsparse_direction_T3_S4_llNS_24const_host_device_scalarIT7_EEPKT2_PKS4_PKT4_S4_PKT5_llS7_PT6_ll16rocsparse_order_21rocsparse_index_base_b
; %bb.0:
	s_clause 0x2
	s_load_b96 s[20:22], s[0:1], 0x88
	s_load_b64 s[2:3], s[0:1], 0x28
	s_load_b64 s[4:5], s[0:1], 0x68
	v_mov_b32_e32 v1, 0
	s_add_nc_u64 s[6:7], s[0:1], 40
	s_add_nc_u64 s[8:9], s[0:1], 0x68
	s_wait_kmcnt 0x0
	s_bitcmp1_b32 s22, 0
	s_cselect_b32 s3, s7, s3
	s_cselect_b32 s2, s6, s2
	;; [unrolled: 1-line block ×4, first 2 shown]
	s_clause 0x1
	flat_load_b64 v[2:3], v1, s[2:3]
	flat_load_b64 v[4:5], v1, s[4:5]
	s_wait_loadcnt_dscnt 0x101
	v_cmp_eq_f32_e32 vcc_lo, 0, v2
	v_cmp_eq_f32_e64 s3, 0, v3
	s_wait_loadcnt_dscnt 0x0
	v_cmp_eq_f32_e64 s4, 1.0, v4
	v_cmp_eq_f32_e64 s2, 0, v5
	s_and_b32 s3, vcc_lo, s3
	s_and_b32 s4, s4, s2
	s_delay_alu instid0(SALU_CYCLE_1) | instskip(NEXT) | instid1(SALU_CYCLE_1)
	s_and_b32 s3, s3, s4
	s_xor_b32 s3, s3, -1
	s_delay_alu instid0(SALU_CYCLE_1)
	s_and_saveexec_b32 s4, s3
	s_cbranch_execz .LBB33_47
; %bb.1:
	s_clause 0x1
	s_load_b128 s[8:11], s[0:1], 0x8
	s_load_b64 s[4:5], s[0:1], 0x30
	s_bfe_u32 s3, ttmp6, 0x4000c
	s_and_b32 s6, ttmp6, 15
	s_add_co_i32 s3, s3, 1
	s_mov_b64 s[24:25], 0
	s_mul_i32 s7, ttmp9, s3
	s_getreg_b32 s3, hwreg(HW_REG_IB_STS2, 6, 4)
	s_add_co_i32 s6, s6, s7
	s_cmp_eq_u32 s3, 0
	s_cselect_b32 s22, ttmp9, s6
	s_delay_alu instid0(SALU_CYCLE_1)
	s_ashr_i32 s23, s22, 31
	s_wait_kmcnt 0x0
	v_cmp_le_i64_e64 s6, s[8:9], s[22:23]
	v_cmp_gt_i64_e64 s7, s[8:9], s[22:23]
	s_mov_b64 s[8:9], 0
	s_and_b32 vcc_lo, exec_lo, s6
	s_cbranch_vccnz .LBB33_3
; %bb.2:
	s_lshl_b64 s[12:13], s[22:23], 3
	s_mov_b32 s15, 0
	s_add_nc_u64 s[12:13], s[4:5], s[12:13]
	s_mov_b32 s14, s21
	s_load_b64 s[12:13], s[12:13], 0x0
	s_wait_kmcnt 0x0
	s_sub_nc_u64 s[24:25], s[12:13], s[14:15]
.LBB33_3:
	s_and_not1_b32 vcc_lo, exec_lo, s7
	s_cbranch_vccnz .LBB33_5
; %bb.4:
	s_lshl_b64 s[8:9], s[22:23], 3
	s_delay_alu instid0(SALU_CYCLE_1)
	s_add_nc_u64 s[4:5], s[4:5], s[8:9]
	s_mov_b32 s9, 0
	s_load_b64 s[4:5], s[4:5], 0x8
	s_mov_b32 s8, s21
	s_wait_kmcnt 0x0
	s_sub_nc_u64 s[8:9], s[4:5], s[8:9]
.LBB33_5:
	s_bfe_u32 s4, ttmp6, 0x40010
	s_clause 0x1
	s_load_b64 s[28:29], s[0:1], 0x48
	s_load_b64 s[26:27], s[0:1], 0x70
	s_add_co_i32 s4, s4, 1
	s_bfe_u32 s5, ttmp6, 0x40004
	s_mul_i32 s4, ttmp7, s4
	v_bfe_u32 v10, v0, 10, 10
	s_add_co_i32 s5, s5, s4
	s_cmp_eq_u32 s3, 0
	v_and_b32_e32 v12, 0x3ff, v0
	s_cselect_b32 s3, ttmp7, s5
	v_cmp_ge_i64_e64 s6, s[24:25], s[8:9]
	v_lshl_add_u32 v8, s3, 5, v10
	v_mov_b32_e32 v9, 0
	s_mov_b32 s31, 0
	s_delay_alu instid0(VALU_DEP_1)
	v_dual_mov_b32 v13, v9 :: v_dual_add_nc_u32 v0, 16, v8
	v_mov_b32_e32 v1, v9
	v_cmp_gt_i64_e64 s4, s[10:11], v[8:9]
	s_and_b32 vcc_lo, exec_lo, s6
	s_wait_kmcnt 0x0
	v_cmp_gt_i64_e64 s3, s[28:29], v[12:13]
	v_cmp_gt_i64_e64 s5, s[10:11], v[0:1]
	s_cbranch_vccnz .LBB33_23
; %bb.6:
	v_dual_mov_b32 v11, v9 :: v_dual_lshlrev_b32 v22, 3, v10
	s_load_b128 s[12:15], s[0:1], 0x50
	v_mul_u64_e32 v[18:19], s[28:29], v[12:13]
	s_clause 0x1
	s_load_b128 s[16:19], s[0:1], 0x38
	s_load_b64 s[36:37], s[0:1], 0x0
	v_mul_u64_e32 v[20:21], s[28:29], v[10:11]
	v_cmp_gt_i64_e32 vcc_lo, s[28:29], v[10:11]
	v_dual_mov_b32 v25, v9 :: v_dual_lshlrev_b32 v24, 3, v12
	v_dual_lshlrev_b32 v26, 5, v10 :: v_dual_lshlrev_b32 v30, 5, v12
	v_mov_b32_e32 v23, v9
	v_cmp_gt_i64_e64 s33, s[28:29], 0
	s_and_b32 s23, s3, vcc_lo
	v_add_nc_u32_e32 v28, 0x200, v26
	v_mov_b64_e32 v[6:7], 0
	v_mov_b64_e32 v[10:11], 0
	v_add_nc_u32_e32 v27, 0x400, v30
	s_mul_u64 s[34:35], s[28:29], s[28:29]
	s_mov_b32 s30, s21
	s_wait_kmcnt 0x0
	v_mul_u64_e32 v[14:15], s[14:15], v[8:9]
	v_mul_u64_e32 v[16:17], s[14:15], v[0:1]
	s_bitcmp1_b32 s36, 0
	s_cselect_b32 s6, -1, 0
	s_cmp_eq_u32 s37, 0
	s_cselect_b32 vcc_lo, -1, 0
	s_and_b32 s21, s4, s33
	s_and_b32 s33, s5, s33
	v_lshl_add_u64 v[18:19], v[18:19], 3, s[18:19]
	v_lshl_add_u64 v[20:21], v[20:21], 3, s[18:19]
	s_delay_alu instid0(VALU_DEP_1) | instskip(SKIP_1) | instid1(VALU_DEP_4)
	v_add_nc_u64_e32 v[20:21], v[20:21], v[24:25]
	v_add_nc_u32_e32 v31, 0x400, v22
	v_add_nc_u64_e32 v[22:23], v[18:19], v[22:23]
	v_add_nc_u64_e32 v[18:19], s[12:13], v[24:25]
	s_delay_alu instid0(VALU_DEP_2) | instskip(NEXT) | instid1(VALU_DEP_3)
	v_dual_add_nc_u32 v29, v24, v26 :: v_dual_cndmask_b32 v21, v21, v23, vcc_lo
	v_cndmask_b32_e32 v20, v20, v22, vcc_lo
	v_add_nc_u32_e32 v30, v31, v30
	s_branch .LBB33_9
.LBB33_7:                               ;   in Loop: Header=BB33_9 Depth=1
	s_or_b32 exec_lo, exec_lo, s37
.LBB33_8:                               ;   in Loop: Header=BB33_9 Depth=1
	s_delay_alu instid0(SALU_CYCLE_1) | instskip(SKIP_1) | instid1(SALU_CYCLE_1)
	s_or_b32 exec_lo, exec_lo, s36
	s_add_nc_u64 s[24:25], s[24:25], 1
	v_cmp_ge_i64_e64 s18, s[24:25], s[8:9]
	s_barrier_signal -1
	s_barrier_wait -1
	s_and_b32 vcc_lo, exec_lo, s18
	s_cbranch_vccnz .LBB33_24
.LBB33_9:                               ; =>This Loop Header: Depth=1
                                        ;     Child Loop BB33_19 Depth 2
                                        ;     Child Loop BB33_22 Depth 2
	s_and_saveexec_b32 s18, s3
	s_cbranch_execz .LBB33_14
; %bb.10:                               ;   in Loop: Header=BB33_9 Depth=1
	s_lshl_b64 s[36:37], s[24:25], 3
	s_delay_alu instid0(SALU_CYCLE_1) | instskip(SKIP_3) | instid1(SALU_CYCLE_1)
	s_add_nc_u64 s[36:37], s[16:17], s[36:37]
	s_load_b64 s[36:37], s[36:37], 0x0
	s_wait_kmcnt 0x0
	s_sub_nc_u64 s[36:37], s[36:37], s[30:31]
	s_mul_u64 s[36:37], s[36:37], s[28:29]
	s_delay_alu instid0(SALU_CYCLE_1) | instskip(SKIP_1) | instid1(VALU_DEP_2)
	v_add_nc_u64_e32 v[22:23], s[36:37], v[12:13]
	v_lshl_add_u64 v[24:25], s[36:37], 3, v[18:19]
	v_mul_u64_e32 v[22:23], s[14:15], v[22:23]
	s_delay_alu instid0(VALU_DEP_1)
	v_lshl_add_u64 v[22:23], v[22:23], 3, s[12:13]
	s_and_saveexec_b32 s19, s4
	s_cbranch_execz .LBB33_12
; %bb.11:                               ;   in Loop: Header=BB33_9 Depth=1
	s_delay_alu instid0(VALU_DEP_1) | instskip(SKIP_1) | instid1(VALU_DEP_1)
	v_lshl_add_u64 v[32:33], v[8:9], 3, v[22:23]
	v_lshl_add_u64 v[34:35], v[14:15], 3, v[24:25]
	v_dual_cndmask_b32 v33, v33, v35, s6 :: v_dual_cndmask_b32 v32, v32, v34, s6
	global_load_b64 v[32:33], v[32:33], off
	s_wait_loadcnt 0x0
	ds_store_b64 v29, v[32:33]
.LBB33_12:                              ;   in Loop: Header=BB33_9 Depth=1
	s_or_b32 exec_lo, exec_lo, s19
	s_delay_alu instid0(SALU_CYCLE_1)
	s_and_b32 exec_lo, exec_lo, s5
	s_cbranch_execz .LBB33_14
; %bb.13:                               ;   in Loop: Header=BB33_9 Depth=1
	v_lshl_add_u64 v[24:25], v[16:17], 3, v[24:25]
	v_lshl_add_u64 v[22:23], v[0:1], 3, v[22:23]
	s_delay_alu instid0(VALU_DEP_1)
	v_dual_cndmask_b32 v23, v23, v25, s6 :: v_dual_cndmask_b32 v22, v22, v24, s6
	global_load_b64 v[22:23], v[22:23], off
	s_wait_loadcnt 0x0
	ds_store_b64 v29, v[22:23] offset:512
.LBB33_14:                              ;   in Loop: Header=BB33_9 Depth=1
	s_or_b32 exec_lo, exec_lo, s18
	s_and_saveexec_b32 s18, s23
	s_cbranch_execz .LBB33_16
; %bb.15:                               ;   in Loop: Header=BB33_9 Depth=1
	s_mul_u64 s[36:37], s[34:35], s[24:25]
	s_delay_alu instid0(SALU_CYCLE_1)
	v_lshl_add_u64 v[22:23], s[36:37], 3, v[20:21]
	global_load_b64 v[22:23], v[22:23], off
	s_wait_loadcnt 0x0
	ds_store_b64 v30, v[22:23]
.LBB33_16:                              ;   in Loop: Header=BB33_9 Depth=1
	s_or_b32 exec_lo, exec_lo, s18
	s_wait_dscnt 0x0
	s_barrier_signal -1
	s_barrier_wait -1
	s_and_saveexec_b32 s36, s3
	s_cbranch_execz .LBB33_8
; %bb.17:                               ;   in Loop: Header=BB33_9 Depth=1
	s_and_saveexec_b32 s37, s21
	s_cbranch_execz .LBB33_20
; %bb.18:                               ;   in Loop: Header=BB33_9 Depth=1
	v_dual_mov_b32 v22, v27 :: v_dual_mov_b32 v23, v26
	s_mov_b64 s[18:19], s[28:29]
.LBB33_19:                              ;   Parent Loop BB33_9 Depth=1
                                        ; =>  This Inner Loop Header: Depth=2
	ds_load_b64 v[24:25], v23
	ds_load_b64 v[32:33], v22
	v_dual_add_nc_u32 v23, 8, v23 :: v_dual_add_nc_u32 v22, 8, v22
	s_add_nc_u64 s[18:19], s[18:19], -1
	s_delay_alu instid0(SALU_CYCLE_1) | instskip(SKIP_2) | instid1(VALU_DEP_1)
	s_cmp_lg_u64 s[18:19], 0
	s_wait_dscnt 0x0
	v_pk_fma_f32 v[10:11], v[32:33], v[24:25], v[10:11] op_sel_hi:[1,0,1]
	v_pk_fma_f32 v[10:11], v[32:33], v[24:25], v[10:11] op_sel:[1,1,0] op_sel_hi:[0,1,1] neg_lo:[1,0,0]
	s_cbranch_scc1 .LBB33_19
.LBB33_20:                              ;   in Loop: Header=BB33_9 Depth=1
	s_or_b32 exec_lo, exec_lo, s37
	s_and_saveexec_b32 s37, s33
	s_cbranch_execz .LBB33_7
; %bb.21:                               ;   in Loop: Header=BB33_9 Depth=1
	v_dual_mov_b32 v22, v27 :: v_dual_mov_b32 v23, v28
	s_mov_b64 s[18:19], s[28:29]
.LBB33_22:                              ;   Parent Loop BB33_9 Depth=1
                                        ; =>  This Inner Loop Header: Depth=2
	ds_load_b64 v[24:25], v23
	ds_load_b64 v[32:33], v22
	v_dual_add_nc_u32 v23, 8, v23 :: v_dual_add_nc_u32 v22, 8, v22
	s_add_nc_u64 s[18:19], s[18:19], -1
	s_delay_alu instid0(SALU_CYCLE_1) | instskip(SKIP_2) | instid1(VALU_DEP_1)
	s_cmp_lg_u64 s[18:19], 0
	s_wait_dscnt 0x0
	v_pk_fma_f32 v[6:7], v[32:33], v[24:25], v[6:7] op_sel_hi:[1,0,1]
	v_pk_fma_f32 v[6:7], v[32:33], v[24:25], v[6:7] op_sel:[1,1,0] op_sel_hi:[0,1,1] neg_lo:[1,0,0]
	s_cbranch_scc1 .LBB33_22
	s_branch .LBB33_7
.LBB33_23:
	v_mov_b64_e32 v[10:11], 0
	v_mov_b64_e32 v[6:7], 0
.LBB33_24:
	s_and_b32 s3, s7, s3
	s_delay_alu instid0(SALU_CYCLE_1)
	s_and_b32 exec_lo, exec_lo, s3
	s_cbranch_execz .LBB33_47
; %bb.25:
	v_mad_nc_u64_u32 v[12:13], s28, s22, v[12:13]
	s_load_b64 s[4:5], s[0:1], 0x78
	v_cmp_neq_f32_e32 vcc_lo, 0, v4
	s_wait_xcnt 0x0
	s_xor_b32 s1, s2, -1
	s_mov_b32 s3, exec_lo
	s_or_b32 s1, vcc_lo, s1
	s_cmp_lg_u32 s20, 1
	s_cselect_b32 s2, -1, 0
	s_delay_alu instid0(VALU_DEP_2) | instskip(SKIP_1) | instid1(VALU_DEP_1)
	v_mad_u32 v13, s29, s22, v13
	s_wait_kmcnt 0x0
	v_mul_u64_e32 v[14:15], s[4:5], v[12:13]
	v_lshl_add_u64 v[12:13], v[12:13], 3, s[26:27]
	s_delay_alu instid0(VALU_DEP_2)
	v_lshl_add_u64 v[14:15], v[14:15], 3, s[26:27]
	v_cmpx_gt_i64_e64 s[10:11], v[8:9]
	s_cbranch_execz .LBB33_36
; %bb.26:
	s_and_saveexec_b32 s0, s1
	s_delay_alu instid0(SALU_CYCLE_1)
	s_xor_b32 s0, exec_lo, s0
	s_cbranch_execz .LBB33_31
; %bb.27:
	s_and_b32 vcc_lo, exec_lo, s2
	s_mov_b32 s6, -1
	s_cbranch_vccz .LBB33_29
; %bb.28:
	v_lshl_add_u64 v[16:17], v[8:9], 3, v[14:15]
	v_xor_b32_e32 v20, 0x80000000, v3
	v_dual_mov_b32 v21, v2 :: v_dual_mov_b32 v23, v4
	v_xor_b32_e32 v22, 0x80000000, v5
	global_load_b64 v[18:19], v[16:17], off
	s_mov_b32 s6, 0
	v_pk_mul_f32 v[20:21], v[10:11], v[20:21] op_sel:[1,0]
	s_delay_alu instid0(VALU_DEP_1) | instskip(SKIP_1) | instid1(VALU_DEP_1)
	v_pk_fma_f32 v[20:21], v[2:3], v[10:11], v[20:21] op_sel_hi:[1,0,1]
	s_wait_loadcnt 0x0
	v_pk_fma_f32 v[20:21], v[4:5], v[18:19], v[20:21] op_sel_hi:[1,0,1]
	s_delay_alu instid0(VALU_DEP_1)
	v_pk_fma_f32 v[18:19], v[22:23], v[18:19], v[20:21] op_sel:[0,1,0]
	global_store_b64 v[16:17], v[18:19], off
.LBB33_29:
	s_and_not1_b32 vcc_lo, exec_lo, s6
	s_cbranch_vccnz .LBB33_31
; %bb.30:
	v_mul_u64_e32 v[8:9], s[4:5], v[8:9]
	s_wait_xcnt 0x0
	v_xor_b32_e32 v18, 0x80000000, v3
	v_mov_b32_e32 v19, v2
	s_delay_alu instid0(VALU_DEP_1) | instskip(NEXT) | instid1(VALU_DEP_1)
	v_pk_mul_f32 v[18:19], v[10:11], v[18:19] op_sel:[1,0]
	v_pk_fma_f32 v[10:11], v[2:3], v[10:11], v[18:19] op_sel_hi:[1,0,1]
	v_xor_b32_e32 v18, 0x80000000, v5
	v_mov_b32_e32 v19, v4
	v_lshl_add_u64 v[8:9], v[8:9], 3, v[12:13]
	global_load_b64 v[16:17], v[8:9], off
	s_wait_loadcnt 0x0
	v_pk_fma_f32 v[10:11], v[4:5], v[16:17], v[10:11] op_sel_hi:[1,0,1]
	s_delay_alu instid0(VALU_DEP_1)
	v_pk_fma_f32 v[10:11], v[18:19], v[16:17], v[10:11] op_sel:[0,1,0]
	global_store_b64 v[8:9], v[10:11], off
                                        ; implicit-def: $vgpr8_vgpr9
                                        ; implicit-def: $vgpr10_vgpr11
.LBB33_31:
	s_wait_xcnt 0x0
	s_and_not1_saveexec_b32 s0, s0
	s_cbranch_execz .LBB33_36
; %bb.32:
	v_xor_b32_e32 v16, 0x80000000, v3
	v_mov_b32_e32 v17, v2
	s_and_b32 vcc_lo, exec_lo, s2
	s_mov_b32 s0, -1
	s_delay_alu instid0(VALU_DEP_1) | instskip(NEXT) | instid1(VALU_DEP_1)
	v_pk_mul_f32 v[16:17], v[10:11], v[16:17] op_sel:[1,0]
	v_pk_fma_f32 v[10:11], v[2:3], v[10:11], v[16:17] op_sel_hi:[1,0,1]
	s_cbranch_vccz .LBB33_34
; %bb.33:
	v_lshl_add_u64 v[16:17], v[8:9], 3, v[14:15]
	s_mov_b32 s0, 0
	global_store_b64 v[16:17], v[10:11], off
.LBB33_34:
	s_and_not1_b32 vcc_lo, exec_lo, s0
	s_cbranch_vccnz .LBB33_36
; %bb.35:
	v_mul_u64_e32 v[8:9], s[4:5], v[8:9]
	s_delay_alu instid0(VALU_DEP_1)
	v_lshl_add_u64 v[8:9], v[8:9], 3, v[12:13]
	global_store_b64 v[8:9], v[10:11], off
.LBB33_36:
	s_wait_xcnt 0x0
	s_or_b32 exec_lo, exec_lo, s3
	v_cmp_gt_i64_e32 vcc_lo, s[10:11], v[0:1]
	s_and_b32 exec_lo, exec_lo, vcc_lo
	s_cbranch_execz .LBB33_47
; %bb.37:
	v_cndmask_b32_e64 v9, 0, 1, s2
	s_and_saveexec_b32 s0, s1
	s_delay_alu instid0(SALU_CYCLE_1)
	s_xor_b32 s0, exec_lo, s0
	s_cbranch_execz .LBB33_42
; %bb.38:
	s_delay_alu instid0(VALU_DEP_1)
	v_cmp_ne_u32_e32 vcc_lo, 1, v9
	v_xor_b32_e32 v8, 0x80000000, v5
	s_mov_b32 s1, -1
	s_cbranch_vccnz .LBB33_40
; %bb.39:
	v_lshl_add_u64 v[10:11], v[0:1], 3, v[14:15]
	v_xor_b32_e32 v16, 0x80000000, v3
	v_dual_mov_b32 v17, v2 :: v_dual_mov_b32 v9, v4
	s_mov_b32 s1, 0
	global_load_b64 v[14:15], v[10:11], off
	v_pk_mul_f32 v[16:17], v[6:7], v[16:17] op_sel:[1,0]
	s_delay_alu instid0(VALU_DEP_1) | instskip(SKIP_1) | instid1(VALU_DEP_1)
	v_pk_fma_f32 v[16:17], v[2:3], v[6:7], v[16:17] op_sel_hi:[1,0,1]
	s_wait_loadcnt 0x0
	v_pk_fma_f32 v[16:17], v[4:5], v[14:15], v[16:17] op_sel_hi:[1,0,1]
	s_delay_alu instid0(VALU_DEP_1)
	v_pk_fma_f32 v[14:15], v[8:9], v[14:15], v[16:17] op_sel:[0,1,0]
	global_store_b64 v[10:11], v[14:15], off
.LBB33_40:
	s_and_not1_b32 vcc_lo, exec_lo, s1
                                        ; implicit-def: $vgpr9
                                        ; implicit-def: $vgpr14_vgpr15
	s_cbranch_vccnz .LBB33_42
; %bb.41:
	v_mul_u64_e32 v[0:1], s[4:5], v[0:1]
                                        ; implicit-def: $vgpr14_vgpr15
	v_mov_b32_e32 v9, v4
	s_delay_alu instid0(VALU_DEP_2) | instskip(SKIP_4) | instid1(VALU_DEP_1)
	v_lshl_add_u64 v[0:1], v[0:1], 3, v[12:13]
	v_xor_b32_e32 v12, 0x80000000, v3
	v_mov_b32_e32 v13, v2
	global_load_b64 v[10:11], v[0:1], off
	v_pk_mul_f32 v[12:13], v[6:7], v[12:13] op_sel:[1,0]
	v_pk_fma_f32 v[2:3], v[2:3], v[6:7], v[12:13] op_sel_hi:[1,0,1]
                                        ; implicit-def: $vgpr12_vgpr13
                                        ; implicit-def: $vgpr6_vgpr7
	s_wait_loadcnt 0x0
	s_delay_alu instid0(VALU_DEP_1) | instskip(NEXT) | instid1(VALU_DEP_1)
	v_pk_fma_f32 v[2:3], v[4:5], v[10:11], v[2:3] op_sel_hi:[1,0,1]
	v_pk_fma_f32 v[2:3], v[8:9], v[10:11], v[2:3] op_sel:[0,1,0]
                                        ; implicit-def: $vgpr9
	global_store_b64 v[0:1], v[2:3], off
                                        ; implicit-def: $vgpr0_vgpr1
                                        ; implicit-def: $vgpr2_vgpr3
.LBB33_42:
	s_wait_xcnt 0x0
	s_and_not1_saveexec_b32 s0, s0
	s_cbranch_execz .LBB33_47
; %bb.43:
	v_xor_b32_e32 v4, 0x80000000, v3
	v_mov_b32_e32 v5, v2
	v_cmp_ne_u32_e32 vcc_lo, 1, v9
	s_mov_b32 s0, -1
	s_delay_alu instid0(VALU_DEP_2) | instskip(NEXT) | instid1(VALU_DEP_1)
	v_pk_mul_f32 v[4:5], v[6:7], v[4:5] op_sel:[1,0]
	v_pk_fma_f32 v[2:3], v[2:3], v[6:7], v[4:5] op_sel_hi:[1,0,1]
	s_cbranch_vccnz .LBB33_45
; %bb.44:
	v_lshl_add_u64 v[4:5], v[0:1], 3, v[14:15]
	s_mov_b32 s0, 0
	global_store_b64 v[4:5], v[2:3], off
.LBB33_45:
	s_and_not1_b32 vcc_lo, exec_lo, s0
	s_cbranch_vccnz .LBB33_47
; %bb.46:
	v_mul_u64_e32 v[0:1], s[4:5], v[0:1]
	s_delay_alu instid0(VALU_DEP_1)
	v_lshl_add_u64 v[0:1], v[0:1], 3, v[12:13]
	global_store_b64 v[0:1], v[2:3], off
.LBB33_47:
	s_endpgm
	.section	.rodata,"a",@progbits
	.p2align	6, 0x0
	.amdhsa_kernel _ZN9rocsparseL31bsrmm_large_blockdim_kernel_extILj4ELj16ELj2Ell21rocsparse_complex_numIfES2_S2_S2_EEvb20rocsparse_direction_T3_S4_llNS_24const_host_device_scalarIT7_EEPKT2_PKS4_PKT4_S4_PKT5_llS7_PT6_ll16rocsparse_order_21rocsparse_index_base_b
		.amdhsa_group_segment_fixed_size 1152
		.amdhsa_private_segment_fixed_size 0
		.amdhsa_kernarg_size 148
		.amdhsa_user_sgpr_count 2
		.amdhsa_user_sgpr_dispatch_ptr 0
		.amdhsa_user_sgpr_queue_ptr 0
		.amdhsa_user_sgpr_kernarg_segment_ptr 1
		.amdhsa_user_sgpr_dispatch_id 0
		.amdhsa_user_sgpr_kernarg_preload_length 0
		.amdhsa_user_sgpr_kernarg_preload_offset 0
		.amdhsa_user_sgpr_private_segment_size 0
		.amdhsa_wavefront_size32 1
		.amdhsa_uses_dynamic_stack 0
		.amdhsa_enable_private_segment 0
		.amdhsa_system_sgpr_workgroup_id_x 1
		.amdhsa_system_sgpr_workgroup_id_y 1
		.amdhsa_system_sgpr_workgroup_id_z 0
		.amdhsa_system_sgpr_workgroup_info 0
		.amdhsa_system_vgpr_workitem_id 1
		.amdhsa_next_free_vgpr 36
		.amdhsa_next_free_sgpr 38
		.amdhsa_named_barrier_count 0
		.amdhsa_reserve_vcc 1
		.amdhsa_float_round_mode_32 0
		.amdhsa_float_round_mode_16_64 0
		.amdhsa_float_denorm_mode_32 3
		.amdhsa_float_denorm_mode_16_64 3
		.amdhsa_fp16_overflow 0
		.amdhsa_memory_ordered 1
		.amdhsa_forward_progress 1
		.amdhsa_inst_pref_size 17
		.amdhsa_round_robin_scheduling 0
		.amdhsa_exception_fp_ieee_invalid_op 0
		.amdhsa_exception_fp_denorm_src 0
		.amdhsa_exception_fp_ieee_div_zero 0
		.amdhsa_exception_fp_ieee_overflow 0
		.amdhsa_exception_fp_ieee_underflow 0
		.amdhsa_exception_fp_ieee_inexact 0
		.amdhsa_exception_int_div_zero 0
	.end_amdhsa_kernel
	.section	.text._ZN9rocsparseL31bsrmm_large_blockdim_kernel_extILj4ELj16ELj2Ell21rocsparse_complex_numIfES2_S2_S2_EEvb20rocsparse_direction_T3_S4_llNS_24const_host_device_scalarIT7_EEPKT2_PKS4_PKT4_S4_PKT5_llS7_PT6_ll16rocsparse_order_21rocsparse_index_base_b,"axG",@progbits,_ZN9rocsparseL31bsrmm_large_blockdim_kernel_extILj4ELj16ELj2Ell21rocsparse_complex_numIfES2_S2_S2_EEvb20rocsparse_direction_T3_S4_llNS_24const_host_device_scalarIT7_EEPKT2_PKS4_PKT4_S4_PKT5_llS7_PT6_ll16rocsparse_order_21rocsparse_index_base_b,comdat
.Lfunc_end33:
	.size	_ZN9rocsparseL31bsrmm_large_blockdim_kernel_extILj4ELj16ELj2Ell21rocsparse_complex_numIfES2_S2_S2_EEvb20rocsparse_direction_T3_S4_llNS_24const_host_device_scalarIT7_EEPKT2_PKS4_PKT4_S4_PKT5_llS7_PT6_ll16rocsparse_order_21rocsparse_index_base_b, .Lfunc_end33-_ZN9rocsparseL31bsrmm_large_blockdim_kernel_extILj4ELj16ELj2Ell21rocsparse_complex_numIfES2_S2_S2_EEvb20rocsparse_direction_T3_S4_llNS_24const_host_device_scalarIT7_EEPKT2_PKS4_PKT4_S4_PKT5_llS7_PT6_ll16rocsparse_order_21rocsparse_index_base_b
                                        ; -- End function
	.set _ZN9rocsparseL31bsrmm_large_blockdim_kernel_extILj4ELj16ELj2Ell21rocsparse_complex_numIfES2_S2_S2_EEvb20rocsparse_direction_T3_S4_llNS_24const_host_device_scalarIT7_EEPKT2_PKS4_PKT4_S4_PKT5_llS7_PT6_ll16rocsparse_order_21rocsparse_index_base_b.num_vgpr, 36
	.set _ZN9rocsparseL31bsrmm_large_blockdim_kernel_extILj4ELj16ELj2Ell21rocsparse_complex_numIfES2_S2_S2_EEvb20rocsparse_direction_T3_S4_llNS_24const_host_device_scalarIT7_EEPKT2_PKS4_PKT4_S4_PKT5_llS7_PT6_ll16rocsparse_order_21rocsparse_index_base_b.num_agpr, 0
	.set _ZN9rocsparseL31bsrmm_large_blockdim_kernel_extILj4ELj16ELj2Ell21rocsparse_complex_numIfES2_S2_S2_EEvb20rocsparse_direction_T3_S4_llNS_24const_host_device_scalarIT7_EEPKT2_PKS4_PKT4_S4_PKT5_llS7_PT6_ll16rocsparse_order_21rocsparse_index_base_b.numbered_sgpr, 38
	.set _ZN9rocsparseL31bsrmm_large_blockdim_kernel_extILj4ELj16ELj2Ell21rocsparse_complex_numIfES2_S2_S2_EEvb20rocsparse_direction_T3_S4_llNS_24const_host_device_scalarIT7_EEPKT2_PKS4_PKT4_S4_PKT5_llS7_PT6_ll16rocsparse_order_21rocsparse_index_base_b.num_named_barrier, 0
	.set _ZN9rocsparseL31bsrmm_large_blockdim_kernel_extILj4ELj16ELj2Ell21rocsparse_complex_numIfES2_S2_S2_EEvb20rocsparse_direction_T3_S4_llNS_24const_host_device_scalarIT7_EEPKT2_PKS4_PKT4_S4_PKT5_llS7_PT6_ll16rocsparse_order_21rocsparse_index_base_b.private_seg_size, 0
	.set _ZN9rocsparseL31bsrmm_large_blockdim_kernel_extILj4ELj16ELj2Ell21rocsparse_complex_numIfES2_S2_S2_EEvb20rocsparse_direction_T3_S4_llNS_24const_host_device_scalarIT7_EEPKT2_PKS4_PKT4_S4_PKT5_llS7_PT6_ll16rocsparse_order_21rocsparse_index_base_b.uses_vcc, 1
	.set _ZN9rocsparseL31bsrmm_large_blockdim_kernel_extILj4ELj16ELj2Ell21rocsparse_complex_numIfES2_S2_S2_EEvb20rocsparse_direction_T3_S4_llNS_24const_host_device_scalarIT7_EEPKT2_PKS4_PKT4_S4_PKT5_llS7_PT6_ll16rocsparse_order_21rocsparse_index_base_b.uses_flat_scratch, 1
	.set _ZN9rocsparseL31bsrmm_large_blockdim_kernel_extILj4ELj16ELj2Ell21rocsparse_complex_numIfES2_S2_S2_EEvb20rocsparse_direction_T3_S4_llNS_24const_host_device_scalarIT7_EEPKT2_PKS4_PKT4_S4_PKT5_llS7_PT6_ll16rocsparse_order_21rocsparse_index_base_b.has_dyn_sized_stack, 0
	.set _ZN9rocsparseL31bsrmm_large_blockdim_kernel_extILj4ELj16ELj2Ell21rocsparse_complex_numIfES2_S2_S2_EEvb20rocsparse_direction_T3_S4_llNS_24const_host_device_scalarIT7_EEPKT2_PKS4_PKT4_S4_PKT5_llS7_PT6_ll16rocsparse_order_21rocsparse_index_base_b.has_recursion, 0
	.set _ZN9rocsparseL31bsrmm_large_blockdim_kernel_extILj4ELj16ELj2Ell21rocsparse_complex_numIfES2_S2_S2_EEvb20rocsparse_direction_T3_S4_llNS_24const_host_device_scalarIT7_EEPKT2_PKS4_PKT4_S4_PKT5_llS7_PT6_ll16rocsparse_order_21rocsparse_index_base_b.has_indirect_call, 0
	.section	.AMDGPU.csdata,"",@progbits
; Kernel info:
; codeLenInByte = 2088
; TotalNumSgprs: 40
; NumVgprs: 36
; ScratchSize: 0
; MemoryBound: 0
; FloatMode: 240
; IeeeMode: 1
; LDSByteSize: 1152 bytes/workgroup (compile time only)
; SGPRBlocks: 0
; VGPRBlocks: 2
; NumSGPRsForWavesPerEU: 40
; NumVGPRsForWavesPerEU: 36
; NamedBarCnt: 0
; Occupancy: 16
; WaveLimiterHint : 1
; COMPUTE_PGM_RSRC2:SCRATCH_EN: 0
; COMPUTE_PGM_RSRC2:USER_SGPR: 2
; COMPUTE_PGM_RSRC2:TRAP_HANDLER: 0
; COMPUTE_PGM_RSRC2:TGID_X_EN: 1
; COMPUTE_PGM_RSRC2:TGID_Y_EN: 1
; COMPUTE_PGM_RSRC2:TGID_Z_EN: 0
; COMPUTE_PGM_RSRC2:TIDIG_COMP_CNT: 1
	.section	.text._ZN9rocsparseL31bsrmm_large_blockdim_kernel_extILj16ELj16ELj2Ell21rocsparse_complex_numIfES2_S2_S2_EEvb20rocsparse_direction_T3_S4_llNS_24const_host_device_scalarIT7_EEPKT2_PKS4_PKT4_S4_PKT5_llS7_PT6_ll16rocsparse_order_21rocsparse_index_base_b,"axG",@progbits,_ZN9rocsparseL31bsrmm_large_blockdim_kernel_extILj16ELj16ELj2Ell21rocsparse_complex_numIfES2_S2_S2_EEvb20rocsparse_direction_T3_S4_llNS_24const_host_device_scalarIT7_EEPKT2_PKS4_PKT4_S4_PKT5_llS7_PT6_ll16rocsparse_order_21rocsparse_index_base_b,comdat
	.globl	_ZN9rocsparseL31bsrmm_large_blockdim_kernel_extILj16ELj16ELj2Ell21rocsparse_complex_numIfES2_S2_S2_EEvb20rocsparse_direction_T3_S4_llNS_24const_host_device_scalarIT7_EEPKT2_PKS4_PKT4_S4_PKT5_llS7_PT6_ll16rocsparse_order_21rocsparse_index_base_b ; -- Begin function _ZN9rocsparseL31bsrmm_large_blockdim_kernel_extILj16ELj16ELj2Ell21rocsparse_complex_numIfES2_S2_S2_EEvb20rocsparse_direction_T3_S4_llNS_24const_host_device_scalarIT7_EEPKT2_PKS4_PKT4_S4_PKT5_llS7_PT6_ll16rocsparse_order_21rocsparse_index_base_b
	.p2align	8
	.type	_ZN9rocsparseL31bsrmm_large_blockdim_kernel_extILj16ELj16ELj2Ell21rocsparse_complex_numIfES2_S2_S2_EEvb20rocsparse_direction_T3_S4_llNS_24const_host_device_scalarIT7_EEPKT2_PKS4_PKT4_S4_PKT5_llS7_PT6_ll16rocsparse_order_21rocsparse_index_base_b,@function
_ZN9rocsparseL31bsrmm_large_blockdim_kernel_extILj16ELj16ELj2Ell21rocsparse_complex_numIfES2_S2_S2_EEvb20rocsparse_direction_T3_S4_llNS_24const_host_device_scalarIT7_EEPKT2_PKS4_PKT4_S4_PKT5_llS7_PT6_ll16rocsparse_order_21rocsparse_index_base_b: ; @_ZN9rocsparseL31bsrmm_large_blockdim_kernel_extILj16ELj16ELj2Ell21rocsparse_complex_numIfES2_S2_S2_EEvb20rocsparse_direction_T3_S4_llNS_24const_host_device_scalarIT7_EEPKT2_PKS4_PKT4_S4_PKT5_llS7_PT6_ll16rocsparse_order_21rocsparse_index_base_b
; %bb.0:
	s_clause 0x2
	s_load_b96 s[20:22], s[0:1], 0x88
	s_load_b64 s[2:3], s[0:1], 0x28
	s_load_b64 s[4:5], s[0:1], 0x68
	v_mov_b32_e32 v1, 0
	s_add_nc_u64 s[6:7], s[0:1], 40
	s_add_nc_u64 s[8:9], s[0:1], 0x68
	s_wait_kmcnt 0x0
	s_bitcmp1_b32 s22, 0
	s_cselect_b32 s3, s7, s3
	s_cselect_b32 s2, s6, s2
	;; [unrolled: 1-line block ×4, first 2 shown]
	s_clause 0x1
	flat_load_b64 v[2:3], v1, s[2:3]
	flat_load_b64 v[4:5], v1, s[4:5]
	s_wait_loadcnt_dscnt 0x101
	v_cmp_eq_f32_e32 vcc_lo, 0, v2
	v_cmp_eq_f32_e64 s3, 0, v3
	s_wait_loadcnt_dscnt 0x0
	v_cmp_eq_f32_e64 s4, 1.0, v4
	v_cmp_eq_f32_e64 s2, 0, v5
	s_and_b32 s3, vcc_lo, s3
	s_and_b32 s4, s4, s2
	s_delay_alu instid0(SALU_CYCLE_1) | instskip(NEXT) | instid1(SALU_CYCLE_1)
	s_and_b32 s3, s3, s4
	s_xor_b32 s3, s3, -1
	s_delay_alu instid0(SALU_CYCLE_1)
	s_and_saveexec_b32 s4, s3
	s_cbranch_execz .LBB34_47
; %bb.1:
	s_clause 0x1
	s_load_b128 s[8:11], s[0:1], 0x8
	s_load_b64 s[4:5], s[0:1], 0x30
	s_bfe_u32 s3, ttmp6, 0x4000c
	s_and_b32 s6, ttmp6, 15
	s_add_co_i32 s3, s3, 1
	s_mov_b64 s[24:25], 0
	s_mul_i32 s7, ttmp9, s3
	s_getreg_b32 s3, hwreg(HW_REG_IB_STS2, 6, 4)
	s_add_co_i32 s6, s6, s7
	s_cmp_eq_u32 s3, 0
	s_cselect_b32 s22, ttmp9, s6
	s_delay_alu instid0(SALU_CYCLE_1)
	s_ashr_i32 s23, s22, 31
	s_wait_kmcnt 0x0
	v_cmp_le_i64_e64 s6, s[8:9], s[22:23]
	v_cmp_gt_i64_e64 s7, s[8:9], s[22:23]
	s_mov_b64 s[8:9], 0
	s_and_b32 vcc_lo, exec_lo, s6
	s_cbranch_vccnz .LBB34_3
; %bb.2:
	s_lshl_b64 s[12:13], s[22:23], 3
	s_mov_b32 s15, 0
	s_add_nc_u64 s[12:13], s[4:5], s[12:13]
	s_mov_b32 s14, s21
	s_load_b64 s[12:13], s[12:13], 0x0
	s_wait_kmcnt 0x0
	s_sub_nc_u64 s[24:25], s[12:13], s[14:15]
.LBB34_3:
	s_and_not1_b32 vcc_lo, exec_lo, s7
	s_cbranch_vccnz .LBB34_5
; %bb.4:
	s_lshl_b64 s[8:9], s[22:23], 3
	s_delay_alu instid0(SALU_CYCLE_1)
	s_add_nc_u64 s[4:5], s[4:5], s[8:9]
	s_mov_b32 s9, 0
	s_load_b64 s[4:5], s[4:5], 0x8
	s_mov_b32 s8, s21
	s_wait_kmcnt 0x0
	s_sub_nc_u64 s[8:9], s[4:5], s[8:9]
.LBB34_5:
	s_bfe_u32 s4, ttmp6, 0x40010
	s_clause 0x1
	s_load_b64 s[28:29], s[0:1], 0x48
	s_load_b64 s[26:27], s[0:1], 0x70
	s_add_co_i32 s4, s4, 1
	s_bfe_u32 s5, ttmp6, 0x40004
	s_mul_i32 s4, ttmp7, s4
	v_bfe_u32 v10, v0, 10, 10
	s_add_co_i32 s5, s5, s4
	s_cmp_eq_u32 s3, 0
	v_and_b32_e32 v12, 0x3ff, v0
	s_cselect_b32 s3, ttmp7, s5
	v_cmp_ge_i64_e64 s6, s[24:25], s[8:9]
	v_lshl_add_u32 v8, s3, 5, v10
	v_mov_b32_e32 v9, 0
	s_mov_b32 s31, 0
	s_delay_alu instid0(VALU_DEP_1)
	v_dual_mov_b32 v13, v9 :: v_dual_add_nc_u32 v0, 16, v8
	v_mov_b32_e32 v1, v9
	v_cmp_gt_i64_e64 s4, s[10:11], v[8:9]
	s_and_b32 vcc_lo, exec_lo, s6
	s_wait_kmcnt 0x0
	v_cmp_gt_i64_e64 s3, s[28:29], v[12:13]
	v_cmp_gt_i64_e64 s5, s[10:11], v[0:1]
	s_cbranch_vccnz .LBB34_23
; %bb.6:
	v_dual_mov_b32 v11, v9 :: v_dual_lshlrev_b32 v22, 3, v10
	s_load_b128 s[12:15], s[0:1], 0x50
	v_mul_u64_e32 v[18:19], s[28:29], v[12:13]
	s_clause 0x1
	s_load_b128 s[16:19], s[0:1], 0x38
	s_load_b64 s[36:37], s[0:1], 0x0
	v_mul_u64_e32 v[20:21], s[28:29], v[10:11]
	v_cmp_gt_i64_e32 vcc_lo, s[28:29], v[10:11]
	v_dual_mov_b32 v25, v9 :: v_dual_lshlrev_b32 v24, 3, v12
	v_dual_lshlrev_b32 v26, 7, v10 :: v_dual_lshlrev_b32 v30, 7, v12
	v_mov_b32_e32 v23, v9
	v_cmp_gt_i64_e64 s33, s[28:29], 0
	s_and_b32 s23, s3, vcc_lo
	v_add_nc_u32_e32 v28, 0x800, v26
	v_mov_b64_e32 v[6:7], 0
	v_mov_b64_e32 v[10:11], 0
	v_add_nc_u32_e32 v27, 0x1000, v30
	s_mul_u64 s[34:35], s[28:29], s[28:29]
	s_mov_b32 s30, s21
	s_wait_kmcnt 0x0
	v_mul_u64_e32 v[14:15], s[14:15], v[8:9]
	v_mul_u64_e32 v[16:17], s[14:15], v[0:1]
	s_bitcmp1_b32 s36, 0
	s_cselect_b32 s6, -1, 0
	s_cmp_eq_u32 s37, 0
	s_cselect_b32 vcc_lo, -1, 0
	s_and_b32 s21, s4, s33
	s_and_b32 s33, s5, s33
	v_lshl_add_u64 v[18:19], v[18:19], 3, s[18:19]
	v_lshl_add_u64 v[20:21], v[20:21], 3, s[18:19]
	s_delay_alu instid0(VALU_DEP_1) | instskip(SKIP_1) | instid1(VALU_DEP_4)
	v_add_nc_u64_e32 v[20:21], v[20:21], v[24:25]
	v_add_nc_u32_e32 v31, 0x1000, v22
	v_add_nc_u64_e32 v[22:23], v[18:19], v[22:23]
	v_add_nc_u64_e32 v[18:19], s[12:13], v[24:25]
	s_delay_alu instid0(VALU_DEP_2) | instskip(NEXT) | instid1(VALU_DEP_3)
	v_dual_add_nc_u32 v29, v24, v26 :: v_dual_cndmask_b32 v21, v21, v23, vcc_lo
	v_cndmask_b32_e32 v20, v20, v22, vcc_lo
	v_add_nc_u32_e32 v30, v31, v30
	s_branch .LBB34_9
.LBB34_7:                               ;   in Loop: Header=BB34_9 Depth=1
	s_or_b32 exec_lo, exec_lo, s37
.LBB34_8:                               ;   in Loop: Header=BB34_9 Depth=1
	s_delay_alu instid0(SALU_CYCLE_1) | instskip(SKIP_1) | instid1(SALU_CYCLE_1)
	s_or_b32 exec_lo, exec_lo, s36
	s_add_nc_u64 s[24:25], s[24:25], 1
	v_cmp_ge_i64_e64 s18, s[24:25], s[8:9]
	s_barrier_signal -1
	s_barrier_wait -1
	s_and_b32 vcc_lo, exec_lo, s18
	s_cbranch_vccnz .LBB34_24
.LBB34_9:                               ; =>This Loop Header: Depth=1
                                        ;     Child Loop BB34_19 Depth 2
                                        ;     Child Loop BB34_22 Depth 2
	s_and_saveexec_b32 s18, s3
	s_cbranch_execz .LBB34_14
; %bb.10:                               ;   in Loop: Header=BB34_9 Depth=1
	s_lshl_b64 s[36:37], s[24:25], 3
	s_delay_alu instid0(SALU_CYCLE_1) | instskip(SKIP_3) | instid1(SALU_CYCLE_1)
	s_add_nc_u64 s[36:37], s[16:17], s[36:37]
	s_load_b64 s[36:37], s[36:37], 0x0
	s_wait_kmcnt 0x0
	s_sub_nc_u64 s[36:37], s[36:37], s[30:31]
	s_mul_u64 s[36:37], s[36:37], s[28:29]
	s_delay_alu instid0(SALU_CYCLE_1) | instskip(SKIP_1) | instid1(VALU_DEP_2)
	v_add_nc_u64_e32 v[22:23], s[36:37], v[12:13]
	v_lshl_add_u64 v[24:25], s[36:37], 3, v[18:19]
	v_mul_u64_e32 v[22:23], s[14:15], v[22:23]
	s_delay_alu instid0(VALU_DEP_1)
	v_lshl_add_u64 v[22:23], v[22:23], 3, s[12:13]
	s_and_saveexec_b32 s19, s4
	s_cbranch_execz .LBB34_12
; %bb.11:                               ;   in Loop: Header=BB34_9 Depth=1
	s_delay_alu instid0(VALU_DEP_1) | instskip(SKIP_1) | instid1(VALU_DEP_1)
	v_lshl_add_u64 v[32:33], v[8:9], 3, v[22:23]
	v_lshl_add_u64 v[34:35], v[14:15], 3, v[24:25]
	v_dual_cndmask_b32 v33, v33, v35, s6 :: v_dual_cndmask_b32 v32, v32, v34, s6
	global_load_b64 v[32:33], v[32:33], off
	s_wait_loadcnt 0x0
	ds_store_b64 v29, v[32:33]
.LBB34_12:                              ;   in Loop: Header=BB34_9 Depth=1
	s_or_b32 exec_lo, exec_lo, s19
	s_delay_alu instid0(SALU_CYCLE_1)
	s_and_b32 exec_lo, exec_lo, s5
	s_cbranch_execz .LBB34_14
; %bb.13:                               ;   in Loop: Header=BB34_9 Depth=1
	v_lshl_add_u64 v[24:25], v[16:17], 3, v[24:25]
	v_lshl_add_u64 v[22:23], v[0:1], 3, v[22:23]
	s_delay_alu instid0(VALU_DEP_1)
	v_dual_cndmask_b32 v23, v23, v25, s6 :: v_dual_cndmask_b32 v22, v22, v24, s6
	global_load_b64 v[22:23], v[22:23], off
	s_wait_loadcnt 0x0
	ds_store_b64 v29, v[22:23] offset:2048
.LBB34_14:                              ;   in Loop: Header=BB34_9 Depth=1
	s_or_b32 exec_lo, exec_lo, s18
	s_and_saveexec_b32 s18, s23
	s_cbranch_execz .LBB34_16
; %bb.15:                               ;   in Loop: Header=BB34_9 Depth=1
	s_mul_u64 s[36:37], s[34:35], s[24:25]
	s_delay_alu instid0(SALU_CYCLE_1)
	v_lshl_add_u64 v[22:23], s[36:37], 3, v[20:21]
	global_load_b64 v[22:23], v[22:23], off
	s_wait_loadcnt 0x0
	ds_store_b64 v30, v[22:23]
.LBB34_16:                              ;   in Loop: Header=BB34_9 Depth=1
	s_or_b32 exec_lo, exec_lo, s18
	s_wait_dscnt 0x0
	s_barrier_signal -1
	s_barrier_wait -1
	s_and_saveexec_b32 s36, s3
	s_cbranch_execz .LBB34_8
; %bb.17:                               ;   in Loop: Header=BB34_9 Depth=1
	s_and_saveexec_b32 s37, s21
	s_cbranch_execz .LBB34_20
; %bb.18:                               ;   in Loop: Header=BB34_9 Depth=1
	v_dual_mov_b32 v22, v27 :: v_dual_mov_b32 v23, v26
	s_mov_b64 s[18:19], s[28:29]
.LBB34_19:                              ;   Parent Loop BB34_9 Depth=1
                                        ; =>  This Inner Loop Header: Depth=2
	ds_load_b64 v[24:25], v23
	ds_load_b64 v[32:33], v22
	v_dual_add_nc_u32 v23, 8, v23 :: v_dual_add_nc_u32 v22, 8, v22
	s_add_nc_u64 s[18:19], s[18:19], -1
	s_delay_alu instid0(SALU_CYCLE_1) | instskip(SKIP_2) | instid1(VALU_DEP_1)
	s_cmp_lg_u64 s[18:19], 0
	s_wait_dscnt 0x0
	v_pk_fma_f32 v[10:11], v[32:33], v[24:25], v[10:11] op_sel_hi:[1,0,1]
	v_pk_fma_f32 v[10:11], v[32:33], v[24:25], v[10:11] op_sel:[1,1,0] op_sel_hi:[0,1,1] neg_lo:[1,0,0]
	s_cbranch_scc1 .LBB34_19
.LBB34_20:                              ;   in Loop: Header=BB34_9 Depth=1
	s_or_b32 exec_lo, exec_lo, s37
	s_and_saveexec_b32 s37, s33
	s_cbranch_execz .LBB34_7
; %bb.21:                               ;   in Loop: Header=BB34_9 Depth=1
	v_dual_mov_b32 v22, v27 :: v_dual_mov_b32 v23, v28
	s_mov_b64 s[18:19], s[28:29]
.LBB34_22:                              ;   Parent Loop BB34_9 Depth=1
                                        ; =>  This Inner Loop Header: Depth=2
	ds_load_b64 v[24:25], v23
	ds_load_b64 v[32:33], v22
	v_dual_add_nc_u32 v23, 8, v23 :: v_dual_add_nc_u32 v22, 8, v22
	s_add_nc_u64 s[18:19], s[18:19], -1
	s_delay_alu instid0(SALU_CYCLE_1) | instskip(SKIP_2) | instid1(VALU_DEP_1)
	s_cmp_lg_u64 s[18:19], 0
	s_wait_dscnt 0x0
	v_pk_fma_f32 v[6:7], v[32:33], v[24:25], v[6:7] op_sel_hi:[1,0,1]
	v_pk_fma_f32 v[6:7], v[32:33], v[24:25], v[6:7] op_sel:[1,1,0] op_sel_hi:[0,1,1] neg_lo:[1,0,0]
	s_cbranch_scc1 .LBB34_22
	s_branch .LBB34_7
.LBB34_23:
	v_mov_b64_e32 v[10:11], 0
	v_mov_b64_e32 v[6:7], 0
.LBB34_24:
	s_and_b32 s3, s7, s3
	s_delay_alu instid0(SALU_CYCLE_1)
	s_and_b32 exec_lo, exec_lo, s3
	s_cbranch_execz .LBB34_47
; %bb.25:
	v_mad_nc_u64_u32 v[12:13], s28, s22, v[12:13]
	s_load_b64 s[4:5], s[0:1], 0x78
	v_cmp_neq_f32_e32 vcc_lo, 0, v4
	s_wait_xcnt 0x0
	s_xor_b32 s1, s2, -1
	s_mov_b32 s3, exec_lo
	s_or_b32 s1, vcc_lo, s1
	s_cmp_lg_u32 s20, 1
	s_cselect_b32 s2, -1, 0
	s_delay_alu instid0(VALU_DEP_2) | instskip(SKIP_1) | instid1(VALU_DEP_1)
	v_mad_u32 v13, s29, s22, v13
	s_wait_kmcnt 0x0
	v_mul_u64_e32 v[14:15], s[4:5], v[12:13]
	v_lshl_add_u64 v[12:13], v[12:13], 3, s[26:27]
	s_delay_alu instid0(VALU_DEP_2)
	v_lshl_add_u64 v[14:15], v[14:15], 3, s[26:27]
	v_cmpx_gt_i64_e64 s[10:11], v[8:9]
	s_cbranch_execz .LBB34_36
; %bb.26:
	s_and_saveexec_b32 s0, s1
	s_delay_alu instid0(SALU_CYCLE_1)
	s_xor_b32 s0, exec_lo, s0
	s_cbranch_execz .LBB34_31
; %bb.27:
	s_and_b32 vcc_lo, exec_lo, s2
	s_mov_b32 s6, -1
	s_cbranch_vccz .LBB34_29
; %bb.28:
	v_lshl_add_u64 v[16:17], v[8:9], 3, v[14:15]
	v_xor_b32_e32 v20, 0x80000000, v3
	v_dual_mov_b32 v21, v2 :: v_dual_mov_b32 v23, v4
	v_xor_b32_e32 v22, 0x80000000, v5
	global_load_b64 v[18:19], v[16:17], off
	s_mov_b32 s6, 0
	v_pk_mul_f32 v[20:21], v[10:11], v[20:21] op_sel:[1,0]
	s_delay_alu instid0(VALU_DEP_1) | instskip(SKIP_1) | instid1(VALU_DEP_1)
	v_pk_fma_f32 v[20:21], v[2:3], v[10:11], v[20:21] op_sel_hi:[1,0,1]
	s_wait_loadcnt 0x0
	v_pk_fma_f32 v[20:21], v[4:5], v[18:19], v[20:21] op_sel_hi:[1,0,1]
	s_delay_alu instid0(VALU_DEP_1)
	v_pk_fma_f32 v[18:19], v[22:23], v[18:19], v[20:21] op_sel:[0,1,0]
	global_store_b64 v[16:17], v[18:19], off
.LBB34_29:
	s_and_not1_b32 vcc_lo, exec_lo, s6
	s_cbranch_vccnz .LBB34_31
; %bb.30:
	v_mul_u64_e32 v[8:9], s[4:5], v[8:9]
	s_wait_xcnt 0x0
	v_xor_b32_e32 v18, 0x80000000, v3
	v_mov_b32_e32 v19, v2
	s_delay_alu instid0(VALU_DEP_1) | instskip(NEXT) | instid1(VALU_DEP_1)
	v_pk_mul_f32 v[18:19], v[10:11], v[18:19] op_sel:[1,0]
	v_pk_fma_f32 v[10:11], v[2:3], v[10:11], v[18:19] op_sel_hi:[1,0,1]
	v_xor_b32_e32 v18, 0x80000000, v5
	v_mov_b32_e32 v19, v4
	v_lshl_add_u64 v[8:9], v[8:9], 3, v[12:13]
	global_load_b64 v[16:17], v[8:9], off
	s_wait_loadcnt 0x0
	v_pk_fma_f32 v[10:11], v[4:5], v[16:17], v[10:11] op_sel_hi:[1,0,1]
	s_delay_alu instid0(VALU_DEP_1)
	v_pk_fma_f32 v[10:11], v[18:19], v[16:17], v[10:11] op_sel:[0,1,0]
	global_store_b64 v[8:9], v[10:11], off
                                        ; implicit-def: $vgpr8_vgpr9
                                        ; implicit-def: $vgpr10_vgpr11
.LBB34_31:
	s_wait_xcnt 0x0
	s_and_not1_saveexec_b32 s0, s0
	s_cbranch_execz .LBB34_36
; %bb.32:
	v_xor_b32_e32 v16, 0x80000000, v3
	v_mov_b32_e32 v17, v2
	s_and_b32 vcc_lo, exec_lo, s2
	s_mov_b32 s0, -1
	s_delay_alu instid0(VALU_DEP_1) | instskip(NEXT) | instid1(VALU_DEP_1)
	v_pk_mul_f32 v[16:17], v[10:11], v[16:17] op_sel:[1,0]
	v_pk_fma_f32 v[10:11], v[2:3], v[10:11], v[16:17] op_sel_hi:[1,0,1]
	s_cbranch_vccz .LBB34_34
; %bb.33:
	v_lshl_add_u64 v[16:17], v[8:9], 3, v[14:15]
	s_mov_b32 s0, 0
	global_store_b64 v[16:17], v[10:11], off
.LBB34_34:
	s_and_not1_b32 vcc_lo, exec_lo, s0
	s_cbranch_vccnz .LBB34_36
; %bb.35:
	v_mul_u64_e32 v[8:9], s[4:5], v[8:9]
	s_delay_alu instid0(VALU_DEP_1)
	v_lshl_add_u64 v[8:9], v[8:9], 3, v[12:13]
	global_store_b64 v[8:9], v[10:11], off
.LBB34_36:
	s_wait_xcnt 0x0
	s_or_b32 exec_lo, exec_lo, s3
	v_cmp_gt_i64_e32 vcc_lo, s[10:11], v[0:1]
	s_and_b32 exec_lo, exec_lo, vcc_lo
	s_cbranch_execz .LBB34_47
; %bb.37:
	v_cndmask_b32_e64 v9, 0, 1, s2
	s_and_saveexec_b32 s0, s1
	s_delay_alu instid0(SALU_CYCLE_1)
	s_xor_b32 s0, exec_lo, s0
	s_cbranch_execz .LBB34_42
; %bb.38:
	s_delay_alu instid0(VALU_DEP_1)
	v_cmp_ne_u32_e32 vcc_lo, 1, v9
	v_xor_b32_e32 v8, 0x80000000, v5
	s_mov_b32 s1, -1
	s_cbranch_vccnz .LBB34_40
; %bb.39:
	v_lshl_add_u64 v[10:11], v[0:1], 3, v[14:15]
	v_xor_b32_e32 v16, 0x80000000, v3
	v_dual_mov_b32 v17, v2 :: v_dual_mov_b32 v9, v4
	s_mov_b32 s1, 0
	global_load_b64 v[14:15], v[10:11], off
	v_pk_mul_f32 v[16:17], v[6:7], v[16:17] op_sel:[1,0]
	s_delay_alu instid0(VALU_DEP_1) | instskip(SKIP_1) | instid1(VALU_DEP_1)
	v_pk_fma_f32 v[16:17], v[2:3], v[6:7], v[16:17] op_sel_hi:[1,0,1]
	s_wait_loadcnt 0x0
	v_pk_fma_f32 v[16:17], v[4:5], v[14:15], v[16:17] op_sel_hi:[1,0,1]
	s_delay_alu instid0(VALU_DEP_1)
	v_pk_fma_f32 v[14:15], v[8:9], v[14:15], v[16:17] op_sel:[0,1,0]
	global_store_b64 v[10:11], v[14:15], off
.LBB34_40:
	s_and_not1_b32 vcc_lo, exec_lo, s1
                                        ; implicit-def: $vgpr9
                                        ; implicit-def: $vgpr14_vgpr15
	s_cbranch_vccnz .LBB34_42
; %bb.41:
	v_mul_u64_e32 v[0:1], s[4:5], v[0:1]
                                        ; implicit-def: $vgpr14_vgpr15
	v_mov_b32_e32 v9, v4
	s_delay_alu instid0(VALU_DEP_2) | instskip(SKIP_4) | instid1(VALU_DEP_1)
	v_lshl_add_u64 v[0:1], v[0:1], 3, v[12:13]
	v_xor_b32_e32 v12, 0x80000000, v3
	v_mov_b32_e32 v13, v2
	global_load_b64 v[10:11], v[0:1], off
	v_pk_mul_f32 v[12:13], v[6:7], v[12:13] op_sel:[1,0]
	v_pk_fma_f32 v[2:3], v[2:3], v[6:7], v[12:13] op_sel_hi:[1,0,1]
                                        ; implicit-def: $vgpr12_vgpr13
                                        ; implicit-def: $vgpr6_vgpr7
	s_wait_loadcnt 0x0
	s_delay_alu instid0(VALU_DEP_1) | instskip(NEXT) | instid1(VALU_DEP_1)
	v_pk_fma_f32 v[2:3], v[4:5], v[10:11], v[2:3] op_sel_hi:[1,0,1]
	v_pk_fma_f32 v[2:3], v[8:9], v[10:11], v[2:3] op_sel:[0,1,0]
                                        ; implicit-def: $vgpr9
	global_store_b64 v[0:1], v[2:3], off
                                        ; implicit-def: $vgpr0_vgpr1
                                        ; implicit-def: $vgpr2_vgpr3
.LBB34_42:
	s_wait_xcnt 0x0
	s_and_not1_saveexec_b32 s0, s0
	s_cbranch_execz .LBB34_47
; %bb.43:
	v_xor_b32_e32 v4, 0x80000000, v3
	v_mov_b32_e32 v5, v2
	v_cmp_ne_u32_e32 vcc_lo, 1, v9
	s_mov_b32 s0, -1
	s_delay_alu instid0(VALU_DEP_2) | instskip(NEXT) | instid1(VALU_DEP_1)
	v_pk_mul_f32 v[4:5], v[6:7], v[4:5] op_sel:[1,0]
	v_pk_fma_f32 v[2:3], v[2:3], v[6:7], v[4:5] op_sel_hi:[1,0,1]
	s_cbranch_vccnz .LBB34_45
; %bb.44:
	v_lshl_add_u64 v[4:5], v[0:1], 3, v[14:15]
	s_mov_b32 s0, 0
	global_store_b64 v[4:5], v[2:3], off
.LBB34_45:
	s_and_not1_b32 vcc_lo, exec_lo, s0
	s_cbranch_vccnz .LBB34_47
; %bb.46:
	v_mul_u64_e32 v[0:1], s[4:5], v[0:1]
	s_delay_alu instid0(VALU_DEP_1)
	v_lshl_add_u64 v[0:1], v[0:1], 3, v[12:13]
	global_store_b64 v[0:1], v[2:3], off
.LBB34_47:
	s_endpgm
	.section	.rodata,"a",@progbits
	.p2align	6, 0x0
	.amdhsa_kernel _ZN9rocsparseL31bsrmm_large_blockdim_kernel_extILj16ELj16ELj2Ell21rocsparse_complex_numIfES2_S2_S2_EEvb20rocsparse_direction_T3_S4_llNS_24const_host_device_scalarIT7_EEPKT2_PKS4_PKT4_S4_PKT5_llS7_PT6_ll16rocsparse_order_21rocsparse_index_base_b
		.amdhsa_group_segment_fixed_size 6144
		.amdhsa_private_segment_fixed_size 0
		.amdhsa_kernarg_size 148
		.amdhsa_user_sgpr_count 2
		.amdhsa_user_sgpr_dispatch_ptr 0
		.amdhsa_user_sgpr_queue_ptr 0
		.amdhsa_user_sgpr_kernarg_segment_ptr 1
		.amdhsa_user_sgpr_dispatch_id 0
		.amdhsa_user_sgpr_kernarg_preload_length 0
		.amdhsa_user_sgpr_kernarg_preload_offset 0
		.amdhsa_user_sgpr_private_segment_size 0
		.amdhsa_wavefront_size32 1
		.amdhsa_uses_dynamic_stack 0
		.amdhsa_enable_private_segment 0
		.amdhsa_system_sgpr_workgroup_id_x 1
		.amdhsa_system_sgpr_workgroup_id_y 1
		.amdhsa_system_sgpr_workgroup_id_z 0
		.amdhsa_system_sgpr_workgroup_info 0
		.amdhsa_system_vgpr_workitem_id 1
		.amdhsa_next_free_vgpr 36
		.amdhsa_next_free_sgpr 38
		.amdhsa_named_barrier_count 0
		.amdhsa_reserve_vcc 1
		.amdhsa_float_round_mode_32 0
		.amdhsa_float_round_mode_16_64 0
		.amdhsa_float_denorm_mode_32 3
		.amdhsa_float_denorm_mode_16_64 3
		.amdhsa_fp16_overflow 0
		.amdhsa_memory_ordered 1
		.amdhsa_forward_progress 1
		.amdhsa_inst_pref_size 17
		.amdhsa_round_robin_scheduling 0
		.amdhsa_exception_fp_ieee_invalid_op 0
		.amdhsa_exception_fp_denorm_src 0
		.amdhsa_exception_fp_ieee_div_zero 0
		.amdhsa_exception_fp_ieee_overflow 0
		.amdhsa_exception_fp_ieee_underflow 0
		.amdhsa_exception_fp_ieee_inexact 0
		.amdhsa_exception_int_div_zero 0
	.end_amdhsa_kernel
	.section	.text._ZN9rocsparseL31bsrmm_large_blockdim_kernel_extILj16ELj16ELj2Ell21rocsparse_complex_numIfES2_S2_S2_EEvb20rocsparse_direction_T3_S4_llNS_24const_host_device_scalarIT7_EEPKT2_PKS4_PKT4_S4_PKT5_llS7_PT6_ll16rocsparse_order_21rocsparse_index_base_b,"axG",@progbits,_ZN9rocsparseL31bsrmm_large_blockdim_kernel_extILj16ELj16ELj2Ell21rocsparse_complex_numIfES2_S2_S2_EEvb20rocsparse_direction_T3_S4_llNS_24const_host_device_scalarIT7_EEPKT2_PKS4_PKT4_S4_PKT5_llS7_PT6_ll16rocsparse_order_21rocsparse_index_base_b,comdat
.Lfunc_end34:
	.size	_ZN9rocsparseL31bsrmm_large_blockdim_kernel_extILj16ELj16ELj2Ell21rocsparse_complex_numIfES2_S2_S2_EEvb20rocsparse_direction_T3_S4_llNS_24const_host_device_scalarIT7_EEPKT2_PKS4_PKT4_S4_PKT5_llS7_PT6_ll16rocsparse_order_21rocsparse_index_base_b, .Lfunc_end34-_ZN9rocsparseL31bsrmm_large_blockdim_kernel_extILj16ELj16ELj2Ell21rocsparse_complex_numIfES2_S2_S2_EEvb20rocsparse_direction_T3_S4_llNS_24const_host_device_scalarIT7_EEPKT2_PKS4_PKT4_S4_PKT5_llS7_PT6_ll16rocsparse_order_21rocsparse_index_base_b
                                        ; -- End function
	.set _ZN9rocsparseL31bsrmm_large_blockdim_kernel_extILj16ELj16ELj2Ell21rocsparse_complex_numIfES2_S2_S2_EEvb20rocsparse_direction_T3_S4_llNS_24const_host_device_scalarIT7_EEPKT2_PKS4_PKT4_S4_PKT5_llS7_PT6_ll16rocsparse_order_21rocsparse_index_base_b.num_vgpr, 36
	.set _ZN9rocsparseL31bsrmm_large_blockdim_kernel_extILj16ELj16ELj2Ell21rocsparse_complex_numIfES2_S2_S2_EEvb20rocsparse_direction_T3_S4_llNS_24const_host_device_scalarIT7_EEPKT2_PKS4_PKT4_S4_PKT5_llS7_PT6_ll16rocsparse_order_21rocsparse_index_base_b.num_agpr, 0
	.set _ZN9rocsparseL31bsrmm_large_blockdim_kernel_extILj16ELj16ELj2Ell21rocsparse_complex_numIfES2_S2_S2_EEvb20rocsparse_direction_T3_S4_llNS_24const_host_device_scalarIT7_EEPKT2_PKS4_PKT4_S4_PKT5_llS7_PT6_ll16rocsparse_order_21rocsparse_index_base_b.numbered_sgpr, 38
	.set _ZN9rocsparseL31bsrmm_large_blockdim_kernel_extILj16ELj16ELj2Ell21rocsparse_complex_numIfES2_S2_S2_EEvb20rocsparse_direction_T3_S4_llNS_24const_host_device_scalarIT7_EEPKT2_PKS4_PKT4_S4_PKT5_llS7_PT6_ll16rocsparse_order_21rocsparse_index_base_b.num_named_barrier, 0
	.set _ZN9rocsparseL31bsrmm_large_blockdim_kernel_extILj16ELj16ELj2Ell21rocsparse_complex_numIfES2_S2_S2_EEvb20rocsparse_direction_T3_S4_llNS_24const_host_device_scalarIT7_EEPKT2_PKS4_PKT4_S4_PKT5_llS7_PT6_ll16rocsparse_order_21rocsparse_index_base_b.private_seg_size, 0
	.set _ZN9rocsparseL31bsrmm_large_blockdim_kernel_extILj16ELj16ELj2Ell21rocsparse_complex_numIfES2_S2_S2_EEvb20rocsparse_direction_T3_S4_llNS_24const_host_device_scalarIT7_EEPKT2_PKS4_PKT4_S4_PKT5_llS7_PT6_ll16rocsparse_order_21rocsparse_index_base_b.uses_vcc, 1
	.set _ZN9rocsparseL31bsrmm_large_blockdim_kernel_extILj16ELj16ELj2Ell21rocsparse_complex_numIfES2_S2_S2_EEvb20rocsparse_direction_T3_S4_llNS_24const_host_device_scalarIT7_EEPKT2_PKS4_PKT4_S4_PKT5_llS7_PT6_ll16rocsparse_order_21rocsparse_index_base_b.uses_flat_scratch, 1
	.set _ZN9rocsparseL31bsrmm_large_blockdim_kernel_extILj16ELj16ELj2Ell21rocsparse_complex_numIfES2_S2_S2_EEvb20rocsparse_direction_T3_S4_llNS_24const_host_device_scalarIT7_EEPKT2_PKS4_PKT4_S4_PKT5_llS7_PT6_ll16rocsparse_order_21rocsparse_index_base_b.has_dyn_sized_stack, 0
	.set _ZN9rocsparseL31bsrmm_large_blockdim_kernel_extILj16ELj16ELj2Ell21rocsparse_complex_numIfES2_S2_S2_EEvb20rocsparse_direction_T3_S4_llNS_24const_host_device_scalarIT7_EEPKT2_PKS4_PKT4_S4_PKT5_llS7_PT6_ll16rocsparse_order_21rocsparse_index_base_b.has_recursion, 0
	.set _ZN9rocsparseL31bsrmm_large_blockdim_kernel_extILj16ELj16ELj2Ell21rocsparse_complex_numIfES2_S2_S2_EEvb20rocsparse_direction_T3_S4_llNS_24const_host_device_scalarIT7_EEPKT2_PKS4_PKT4_S4_PKT5_llS7_PT6_ll16rocsparse_order_21rocsparse_index_base_b.has_indirect_call, 0
	.section	.AMDGPU.csdata,"",@progbits
; Kernel info:
; codeLenInByte = 2088
; TotalNumSgprs: 40
; NumVgprs: 36
; ScratchSize: 0
; MemoryBound: 0
; FloatMode: 240
; IeeeMode: 1
; LDSByteSize: 6144 bytes/workgroup (compile time only)
; SGPRBlocks: 0
; VGPRBlocks: 2
; NumSGPRsForWavesPerEU: 40
; NumVGPRsForWavesPerEU: 36
; NamedBarCnt: 0
; Occupancy: 16
; WaveLimiterHint : 1
; COMPUTE_PGM_RSRC2:SCRATCH_EN: 0
; COMPUTE_PGM_RSRC2:USER_SGPR: 2
; COMPUTE_PGM_RSRC2:TRAP_HANDLER: 0
; COMPUTE_PGM_RSRC2:TGID_X_EN: 1
; COMPUTE_PGM_RSRC2:TGID_Y_EN: 1
; COMPUTE_PGM_RSRC2:TGID_Z_EN: 0
; COMPUTE_PGM_RSRC2:TIDIG_COMP_CNT: 1
	.section	.text._ZN9rocsparseL31bsrmm_large_blockdim_kernel_extILj32ELj32ELj2Ell21rocsparse_complex_numIfES2_S2_S2_EEvb20rocsparse_direction_T3_S4_llNS_24const_host_device_scalarIT7_EEPKT2_PKS4_PKT4_S4_PKT5_llS7_PT6_ll16rocsparse_order_21rocsparse_index_base_b,"axG",@progbits,_ZN9rocsparseL31bsrmm_large_blockdim_kernel_extILj32ELj32ELj2Ell21rocsparse_complex_numIfES2_S2_S2_EEvb20rocsparse_direction_T3_S4_llNS_24const_host_device_scalarIT7_EEPKT2_PKS4_PKT4_S4_PKT5_llS7_PT6_ll16rocsparse_order_21rocsparse_index_base_b,comdat
	.globl	_ZN9rocsparseL31bsrmm_large_blockdim_kernel_extILj32ELj32ELj2Ell21rocsparse_complex_numIfES2_S2_S2_EEvb20rocsparse_direction_T3_S4_llNS_24const_host_device_scalarIT7_EEPKT2_PKS4_PKT4_S4_PKT5_llS7_PT6_ll16rocsparse_order_21rocsparse_index_base_b ; -- Begin function _ZN9rocsparseL31bsrmm_large_blockdim_kernel_extILj32ELj32ELj2Ell21rocsparse_complex_numIfES2_S2_S2_EEvb20rocsparse_direction_T3_S4_llNS_24const_host_device_scalarIT7_EEPKT2_PKS4_PKT4_S4_PKT5_llS7_PT6_ll16rocsparse_order_21rocsparse_index_base_b
	.p2align	8
	.type	_ZN9rocsparseL31bsrmm_large_blockdim_kernel_extILj32ELj32ELj2Ell21rocsparse_complex_numIfES2_S2_S2_EEvb20rocsparse_direction_T3_S4_llNS_24const_host_device_scalarIT7_EEPKT2_PKS4_PKT4_S4_PKT5_llS7_PT6_ll16rocsparse_order_21rocsparse_index_base_b,@function
_ZN9rocsparseL31bsrmm_large_blockdim_kernel_extILj32ELj32ELj2Ell21rocsparse_complex_numIfES2_S2_S2_EEvb20rocsparse_direction_T3_S4_llNS_24const_host_device_scalarIT7_EEPKT2_PKS4_PKT4_S4_PKT5_llS7_PT6_ll16rocsparse_order_21rocsparse_index_base_b: ; @_ZN9rocsparseL31bsrmm_large_blockdim_kernel_extILj32ELj32ELj2Ell21rocsparse_complex_numIfES2_S2_S2_EEvb20rocsparse_direction_T3_S4_llNS_24const_host_device_scalarIT7_EEPKT2_PKS4_PKT4_S4_PKT5_llS7_PT6_ll16rocsparse_order_21rocsparse_index_base_b
; %bb.0:
	s_clause 0x2
	s_load_b96 s[20:22], s[0:1], 0x88
	s_load_b64 s[2:3], s[0:1], 0x28
	s_load_b64 s[4:5], s[0:1], 0x68
	v_mov_b32_e32 v1, 0
	s_add_nc_u64 s[6:7], s[0:1], 40
	s_add_nc_u64 s[8:9], s[0:1], 0x68
	s_wait_kmcnt 0x0
	s_bitcmp1_b32 s22, 0
	s_cselect_b32 s3, s7, s3
	s_cselect_b32 s2, s6, s2
	;; [unrolled: 1-line block ×4, first 2 shown]
	s_clause 0x1
	flat_load_b64 v[2:3], v1, s[2:3]
	flat_load_b64 v[4:5], v1, s[4:5]
	s_wait_loadcnt_dscnt 0x101
	v_cmp_eq_f32_e32 vcc_lo, 0, v2
	v_cmp_eq_f32_e64 s3, 0, v3
	s_wait_loadcnt_dscnt 0x0
	v_cmp_eq_f32_e64 s4, 1.0, v4
	v_cmp_eq_f32_e64 s2, 0, v5
	s_and_b32 s3, vcc_lo, s3
	s_and_b32 s4, s4, s2
	s_delay_alu instid0(SALU_CYCLE_1) | instskip(NEXT) | instid1(SALU_CYCLE_1)
	s_and_b32 s3, s3, s4
	s_xor_b32 s3, s3, -1
	s_delay_alu instid0(SALU_CYCLE_1)
	s_and_saveexec_b32 s4, s3
	s_cbranch_execz .LBB35_47
; %bb.1:
	s_clause 0x1
	s_load_b128 s[8:11], s[0:1], 0x8
	s_load_b64 s[4:5], s[0:1], 0x30
	s_bfe_u32 s3, ttmp6, 0x4000c
	s_and_b32 s6, ttmp6, 15
	s_add_co_i32 s3, s3, 1
	s_mov_b64 s[24:25], 0
	s_mul_i32 s7, ttmp9, s3
	s_getreg_b32 s3, hwreg(HW_REG_IB_STS2, 6, 4)
	s_add_co_i32 s6, s6, s7
	s_cmp_eq_u32 s3, 0
	s_cselect_b32 s22, ttmp9, s6
	s_delay_alu instid0(SALU_CYCLE_1)
	s_ashr_i32 s23, s22, 31
	s_wait_kmcnt 0x0
	v_cmp_le_i64_e64 s6, s[8:9], s[22:23]
	v_cmp_gt_i64_e64 s7, s[8:9], s[22:23]
	s_mov_b64 s[8:9], 0
	s_and_b32 vcc_lo, exec_lo, s6
	s_cbranch_vccnz .LBB35_3
; %bb.2:
	s_lshl_b64 s[12:13], s[22:23], 3
	s_mov_b32 s15, 0
	s_add_nc_u64 s[12:13], s[4:5], s[12:13]
	s_mov_b32 s14, s21
	s_load_b64 s[12:13], s[12:13], 0x0
	s_wait_kmcnt 0x0
	s_sub_nc_u64 s[24:25], s[12:13], s[14:15]
.LBB35_3:
	s_and_not1_b32 vcc_lo, exec_lo, s7
	s_cbranch_vccnz .LBB35_5
; %bb.4:
	s_lshl_b64 s[8:9], s[22:23], 3
	s_delay_alu instid0(SALU_CYCLE_1)
	s_add_nc_u64 s[4:5], s[4:5], s[8:9]
	s_mov_b32 s9, 0
	s_load_b64 s[4:5], s[4:5], 0x8
	s_mov_b32 s8, s21
	s_wait_kmcnt 0x0
	s_sub_nc_u64 s[8:9], s[4:5], s[8:9]
.LBB35_5:
	s_bfe_u32 s4, ttmp6, 0x40010
	s_clause 0x1
	s_load_b64 s[28:29], s[0:1], 0x48
	s_load_b64 s[26:27], s[0:1], 0x70
	s_add_co_i32 s4, s4, 1
	s_bfe_u32 s5, ttmp6, 0x40004
	s_mul_i32 s4, ttmp7, s4
	v_bfe_u32 v10, v0, 10, 10
	s_add_co_i32 s5, s5, s4
	s_cmp_eq_u32 s3, 0
	v_and_b32_e32 v12, 0x3ff, v0
	s_cselect_b32 s3, ttmp7, s5
	v_cmp_ge_i64_e64 s6, s[24:25], s[8:9]
	v_lshl_add_u32 v8, s3, 6, v10
	v_mov_b32_e32 v9, 0
	s_mov_b32 s31, 0
	s_delay_alu instid0(VALU_DEP_1)
	v_dual_mov_b32 v13, v9 :: v_dual_add_nc_u32 v0, 32, v8
	v_mov_b32_e32 v1, v9
	v_cmp_gt_i64_e64 s4, s[10:11], v[8:9]
	s_and_b32 vcc_lo, exec_lo, s6
	s_wait_kmcnt 0x0
	v_cmp_gt_i64_e64 s3, s[28:29], v[12:13]
	v_cmp_gt_i64_e64 s5, s[10:11], v[0:1]
	s_cbranch_vccnz .LBB35_23
; %bb.6:
	v_dual_mov_b32 v11, v9 :: v_dual_lshlrev_b32 v22, 3, v10
	s_load_b128 s[12:15], s[0:1], 0x50
	v_mul_u64_e32 v[18:19], s[28:29], v[12:13]
	s_clause 0x1
	s_load_b128 s[16:19], s[0:1], 0x38
	s_load_b64 s[36:37], s[0:1], 0x0
	v_mul_u64_e32 v[20:21], s[28:29], v[10:11]
	v_cmp_gt_i64_e32 vcc_lo, s[28:29], v[10:11]
	v_dual_mov_b32 v25, v9 :: v_dual_lshlrev_b32 v24, 3, v12
	v_dual_lshlrev_b32 v26, 8, v10 :: v_dual_lshlrev_b32 v30, 8, v12
	v_mov_b32_e32 v23, v9
	v_cmp_gt_i64_e64 s33, s[28:29], 0
	s_and_b32 s23, s3, vcc_lo
	v_add_nc_u32_e32 v28, 0x2000, v26
	v_mov_b64_e32 v[6:7], 0
	v_mov_b64_e32 v[10:11], 0
	v_add_nc_u32_e32 v27, 0x4000, v30
	s_mul_u64 s[34:35], s[28:29], s[28:29]
	s_mov_b32 s30, s21
	s_wait_kmcnt 0x0
	v_mul_u64_e32 v[14:15], s[14:15], v[8:9]
	v_mul_u64_e32 v[16:17], s[14:15], v[0:1]
	s_bitcmp1_b32 s36, 0
	s_cselect_b32 s6, -1, 0
	s_cmp_eq_u32 s37, 0
	s_cselect_b32 vcc_lo, -1, 0
	s_and_b32 s21, s4, s33
	s_and_b32 s33, s5, s33
	v_lshl_add_u64 v[18:19], v[18:19], 3, s[18:19]
	v_lshl_add_u64 v[20:21], v[20:21], 3, s[18:19]
	s_delay_alu instid0(VALU_DEP_1) | instskip(SKIP_1) | instid1(VALU_DEP_4)
	v_add_nc_u64_e32 v[20:21], v[20:21], v[24:25]
	v_add_nc_u32_e32 v31, 0x4000, v22
	v_add_nc_u64_e32 v[22:23], v[18:19], v[22:23]
	v_add_nc_u64_e32 v[18:19], s[12:13], v[24:25]
	s_delay_alu instid0(VALU_DEP_2) | instskip(NEXT) | instid1(VALU_DEP_3)
	v_dual_add_nc_u32 v29, v24, v26 :: v_dual_cndmask_b32 v21, v21, v23, vcc_lo
	v_cndmask_b32_e32 v20, v20, v22, vcc_lo
	v_add_nc_u32_e32 v30, v31, v30
	s_branch .LBB35_9
.LBB35_7:                               ;   in Loop: Header=BB35_9 Depth=1
	s_or_b32 exec_lo, exec_lo, s37
.LBB35_8:                               ;   in Loop: Header=BB35_9 Depth=1
	s_delay_alu instid0(SALU_CYCLE_1) | instskip(SKIP_1) | instid1(SALU_CYCLE_1)
	s_or_b32 exec_lo, exec_lo, s36
	s_add_nc_u64 s[24:25], s[24:25], 1
	v_cmp_ge_i64_e64 s18, s[24:25], s[8:9]
	s_barrier_signal -1
	s_barrier_wait -1
	s_and_b32 vcc_lo, exec_lo, s18
	s_cbranch_vccnz .LBB35_24
.LBB35_9:                               ; =>This Loop Header: Depth=1
                                        ;     Child Loop BB35_19 Depth 2
                                        ;     Child Loop BB35_22 Depth 2
	s_and_saveexec_b32 s18, s3
	s_cbranch_execz .LBB35_14
; %bb.10:                               ;   in Loop: Header=BB35_9 Depth=1
	s_lshl_b64 s[36:37], s[24:25], 3
	s_delay_alu instid0(SALU_CYCLE_1) | instskip(SKIP_3) | instid1(SALU_CYCLE_1)
	s_add_nc_u64 s[36:37], s[16:17], s[36:37]
	s_load_b64 s[36:37], s[36:37], 0x0
	s_wait_kmcnt 0x0
	s_sub_nc_u64 s[36:37], s[36:37], s[30:31]
	s_mul_u64 s[36:37], s[36:37], s[28:29]
	s_delay_alu instid0(SALU_CYCLE_1) | instskip(SKIP_1) | instid1(VALU_DEP_2)
	v_add_nc_u64_e32 v[22:23], s[36:37], v[12:13]
	v_lshl_add_u64 v[24:25], s[36:37], 3, v[18:19]
	v_mul_u64_e32 v[22:23], s[14:15], v[22:23]
	s_delay_alu instid0(VALU_DEP_1)
	v_lshl_add_u64 v[22:23], v[22:23], 3, s[12:13]
	s_and_saveexec_b32 s19, s4
	s_cbranch_execz .LBB35_12
; %bb.11:                               ;   in Loop: Header=BB35_9 Depth=1
	s_delay_alu instid0(VALU_DEP_1) | instskip(SKIP_1) | instid1(VALU_DEP_1)
	v_lshl_add_u64 v[32:33], v[8:9], 3, v[22:23]
	v_lshl_add_u64 v[34:35], v[14:15], 3, v[24:25]
	v_dual_cndmask_b32 v33, v33, v35, s6 :: v_dual_cndmask_b32 v32, v32, v34, s6
	global_load_b64 v[32:33], v[32:33], off
	s_wait_loadcnt 0x0
	ds_store_b64 v29, v[32:33]
.LBB35_12:                              ;   in Loop: Header=BB35_9 Depth=1
	s_or_b32 exec_lo, exec_lo, s19
	s_delay_alu instid0(SALU_CYCLE_1)
	s_and_b32 exec_lo, exec_lo, s5
	s_cbranch_execz .LBB35_14
; %bb.13:                               ;   in Loop: Header=BB35_9 Depth=1
	v_lshl_add_u64 v[24:25], v[16:17], 3, v[24:25]
	v_lshl_add_u64 v[22:23], v[0:1], 3, v[22:23]
	s_delay_alu instid0(VALU_DEP_1)
	v_dual_cndmask_b32 v23, v23, v25, s6 :: v_dual_cndmask_b32 v22, v22, v24, s6
	global_load_b64 v[22:23], v[22:23], off
	s_wait_loadcnt 0x0
	ds_store_b64 v29, v[22:23] offset:8192
.LBB35_14:                              ;   in Loop: Header=BB35_9 Depth=1
	s_or_b32 exec_lo, exec_lo, s18
	s_and_saveexec_b32 s18, s23
	s_cbranch_execz .LBB35_16
; %bb.15:                               ;   in Loop: Header=BB35_9 Depth=1
	s_mul_u64 s[36:37], s[34:35], s[24:25]
	s_delay_alu instid0(SALU_CYCLE_1)
	v_lshl_add_u64 v[22:23], s[36:37], 3, v[20:21]
	global_load_b64 v[22:23], v[22:23], off
	s_wait_loadcnt 0x0
	ds_store_b64 v30, v[22:23]
.LBB35_16:                              ;   in Loop: Header=BB35_9 Depth=1
	s_or_b32 exec_lo, exec_lo, s18
	s_wait_dscnt 0x0
	s_barrier_signal -1
	s_barrier_wait -1
	s_and_saveexec_b32 s36, s3
	s_cbranch_execz .LBB35_8
; %bb.17:                               ;   in Loop: Header=BB35_9 Depth=1
	s_and_saveexec_b32 s37, s21
	s_cbranch_execz .LBB35_20
; %bb.18:                               ;   in Loop: Header=BB35_9 Depth=1
	v_dual_mov_b32 v22, v27 :: v_dual_mov_b32 v23, v26
	s_mov_b64 s[18:19], s[28:29]
.LBB35_19:                              ;   Parent Loop BB35_9 Depth=1
                                        ; =>  This Inner Loop Header: Depth=2
	ds_load_b64 v[24:25], v23
	ds_load_b64 v[32:33], v22
	v_dual_add_nc_u32 v23, 8, v23 :: v_dual_add_nc_u32 v22, 8, v22
	s_add_nc_u64 s[18:19], s[18:19], -1
	s_delay_alu instid0(SALU_CYCLE_1) | instskip(SKIP_2) | instid1(VALU_DEP_1)
	s_cmp_lg_u64 s[18:19], 0
	s_wait_dscnt 0x0
	v_pk_fma_f32 v[10:11], v[32:33], v[24:25], v[10:11] op_sel_hi:[1,0,1]
	v_pk_fma_f32 v[10:11], v[32:33], v[24:25], v[10:11] op_sel:[1,1,0] op_sel_hi:[0,1,1] neg_lo:[1,0,0]
	s_cbranch_scc1 .LBB35_19
.LBB35_20:                              ;   in Loop: Header=BB35_9 Depth=1
	s_or_b32 exec_lo, exec_lo, s37
	s_and_saveexec_b32 s37, s33
	s_cbranch_execz .LBB35_7
; %bb.21:                               ;   in Loop: Header=BB35_9 Depth=1
	v_dual_mov_b32 v22, v27 :: v_dual_mov_b32 v23, v28
	s_mov_b64 s[18:19], s[28:29]
.LBB35_22:                              ;   Parent Loop BB35_9 Depth=1
                                        ; =>  This Inner Loop Header: Depth=2
	ds_load_b64 v[24:25], v23
	ds_load_b64 v[32:33], v22
	v_dual_add_nc_u32 v23, 8, v23 :: v_dual_add_nc_u32 v22, 8, v22
	s_add_nc_u64 s[18:19], s[18:19], -1
	s_delay_alu instid0(SALU_CYCLE_1) | instskip(SKIP_2) | instid1(VALU_DEP_1)
	s_cmp_lg_u64 s[18:19], 0
	s_wait_dscnt 0x0
	v_pk_fma_f32 v[6:7], v[32:33], v[24:25], v[6:7] op_sel_hi:[1,0,1]
	v_pk_fma_f32 v[6:7], v[32:33], v[24:25], v[6:7] op_sel:[1,1,0] op_sel_hi:[0,1,1] neg_lo:[1,0,0]
	s_cbranch_scc1 .LBB35_22
	s_branch .LBB35_7
.LBB35_23:
	v_mov_b64_e32 v[10:11], 0
	v_mov_b64_e32 v[6:7], 0
.LBB35_24:
	s_and_b32 s3, s7, s3
	s_delay_alu instid0(SALU_CYCLE_1)
	s_and_b32 exec_lo, exec_lo, s3
	s_cbranch_execz .LBB35_47
; %bb.25:
	v_mad_nc_u64_u32 v[12:13], s28, s22, v[12:13]
	s_load_b64 s[4:5], s[0:1], 0x78
	v_cmp_neq_f32_e32 vcc_lo, 0, v4
	s_wait_xcnt 0x0
	s_xor_b32 s1, s2, -1
	s_mov_b32 s3, exec_lo
	s_or_b32 s1, vcc_lo, s1
	s_cmp_lg_u32 s20, 1
	s_cselect_b32 s2, -1, 0
	s_delay_alu instid0(VALU_DEP_2) | instskip(SKIP_1) | instid1(VALU_DEP_1)
	v_mad_u32 v13, s29, s22, v13
	s_wait_kmcnt 0x0
	v_mul_u64_e32 v[14:15], s[4:5], v[12:13]
	v_lshl_add_u64 v[12:13], v[12:13], 3, s[26:27]
	s_delay_alu instid0(VALU_DEP_2)
	v_lshl_add_u64 v[14:15], v[14:15], 3, s[26:27]
	v_cmpx_gt_i64_e64 s[10:11], v[8:9]
	s_cbranch_execz .LBB35_36
; %bb.26:
	s_and_saveexec_b32 s0, s1
	s_delay_alu instid0(SALU_CYCLE_1)
	s_xor_b32 s0, exec_lo, s0
	s_cbranch_execz .LBB35_31
; %bb.27:
	s_and_b32 vcc_lo, exec_lo, s2
	s_mov_b32 s6, -1
	s_cbranch_vccz .LBB35_29
; %bb.28:
	v_lshl_add_u64 v[16:17], v[8:9], 3, v[14:15]
	v_xor_b32_e32 v20, 0x80000000, v3
	v_dual_mov_b32 v21, v2 :: v_dual_mov_b32 v23, v4
	v_xor_b32_e32 v22, 0x80000000, v5
	global_load_b64 v[18:19], v[16:17], off
	s_mov_b32 s6, 0
	v_pk_mul_f32 v[20:21], v[10:11], v[20:21] op_sel:[1,0]
	s_delay_alu instid0(VALU_DEP_1) | instskip(SKIP_1) | instid1(VALU_DEP_1)
	v_pk_fma_f32 v[20:21], v[2:3], v[10:11], v[20:21] op_sel_hi:[1,0,1]
	s_wait_loadcnt 0x0
	v_pk_fma_f32 v[20:21], v[4:5], v[18:19], v[20:21] op_sel_hi:[1,0,1]
	s_delay_alu instid0(VALU_DEP_1)
	v_pk_fma_f32 v[18:19], v[22:23], v[18:19], v[20:21] op_sel:[0,1,0]
	global_store_b64 v[16:17], v[18:19], off
.LBB35_29:
	s_and_not1_b32 vcc_lo, exec_lo, s6
	s_cbranch_vccnz .LBB35_31
; %bb.30:
	v_mul_u64_e32 v[8:9], s[4:5], v[8:9]
	s_wait_xcnt 0x0
	v_xor_b32_e32 v18, 0x80000000, v3
	v_mov_b32_e32 v19, v2
	s_delay_alu instid0(VALU_DEP_1) | instskip(NEXT) | instid1(VALU_DEP_1)
	v_pk_mul_f32 v[18:19], v[10:11], v[18:19] op_sel:[1,0]
	v_pk_fma_f32 v[10:11], v[2:3], v[10:11], v[18:19] op_sel_hi:[1,0,1]
	v_xor_b32_e32 v18, 0x80000000, v5
	v_mov_b32_e32 v19, v4
	v_lshl_add_u64 v[8:9], v[8:9], 3, v[12:13]
	global_load_b64 v[16:17], v[8:9], off
	s_wait_loadcnt 0x0
	v_pk_fma_f32 v[10:11], v[4:5], v[16:17], v[10:11] op_sel_hi:[1,0,1]
	s_delay_alu instid0(VALU_DEP_1)
	v_pk_fma_f32 v[10:11], v[18:19], v[16:17], v[10:11] op_sel:[0,1,0]
	global_store_b64 v[8:9], v[10:11], off
                                        ; implicit-def: $vgpr8_vgpr9
                                        ; implicit-def: $vgpr10_vgpr11
.LBB35_31:
	s_wait_xcnt 0x0
	s_and_not1_saveexec_b32 s0, s0
	s_cbranch_execz .LBB35_36
; %bb.32:
	v_xor_b32_e32 v16, 0x80000000, v3
	v_mov_b32_e32 v17, v2
	s_and_b32 vcc_lo, exec_lo, s2
	s_mov_b32 s0, -1
	s_delay_alu instid0(VALU_DEP_1) | instskip(NEXT) | instid1(VALU_DEP_1)
	v_pk_mul_f32 v[16:17], v[10:11], v[16:17] op_sel:[1,0]
	v_pk_fma_f32 v[10:11], v[2:3], v[10:11], v[16:17] op_sel_hi:[1,0,1]
	s_cbranch_vccz .LBB35_34
; %bb.33:
	v_lshl_add_u64 v[16:17], v[8:9], 3, v[14:15]
	s_mov_b32 s0, 0
	global_store_b64 v[16:17], v[10:11], off
.LBB35_34:
	s_and_not1_b32 vcc_lo, exec_lo, s0
	s_cbranch_vccnz .LBB35_36
; %bb.35:
	v_mul_u64_e32 v[8:9], s[4:5], v[8:9]
	s_delay_alu instid0(VALU_DEP_1)
	v_lshl_add_u64 v[8:9], v[8:9], 3, v[12:13]
	global_store_b64 v[8:9], v[10:11], off
.LBB35_36:
	s_wait_xcnt 0x0
	s_or_b32 exec_lo, exec_lo, s3
	v_cmp_gt_i64_e32 vcc_lo, s[10:11], v[0:1]
	s_and_b32 exec_lo, exec_lo, vcc_lo
	s_cbranch_execz .LBB35_47
; %bb.37:
	v_cndmask_b32_e64 v9, 0, 1, s2
	s_and_saveexec_b32 s0, s1
	s_delay_alu instid0(SALU_CYCLE_1)
	s_xor_b32 s0, exec_lo, s0
	s_cbranch_execz .LBB35_42
; %bb.38:
	s_delay_alu instid0(VALU_DEP_1)
	v_cmp_ne_u32_e32 vcc_lo, 1, v9
	v_xor_b32_e32 v8, 0x80000000, v5
	s_mov_b32 s1, -1
	s_cbranch_vccnz .LBB35_40
; %bb.39:
	v_lshl_add_u64 v[10:11], v[0:1], 3, v[14:15]
	v_xor_b32_e32 v16, 0x80000000, v3
	v_dual_mov_b32 v17, v2 :: v_dual_mov_b32 v9, v4
	s_mov_b32 s1, 0
	global_load_b64 v[14:15], v[10:11], off
	v_pk_mul_f32 v[16:17], v[6:7], v[16:17] op_sel:[1,0]
	s_delay_alu instid0(VALU_DEP_1) | instskip(SKIP_1) | instid1(VALU_DEP_1)
	v_pk_fma_f32 v[16:17], v[2:3], v[6:7], v[16:17] op_sel_hi:[1,0,1]
	s_wait_loadcnt 0x0
	v_pk_fma_f32 v[16:17], v[4:5], v[14:15], v[16:17] op_sel_hi:[1,0,1]
	s_delay_alu instid0(VALU_DEP_1)
	v_pk_fma_f32 v[14:15], v[8:9], v[14:15], v[16:17] op_sel:[0,1,0]
	global_store_b64 v[10:11], v[14:15], off
.LBB35_40:
	s_and_not1_b32 vcc_lo, exec_lo, s1
                                        ; implicit-def: $vgpr9
                                        ; implicit-def: $vgpr14_vgpr15
	s_cbranch_vccnz .LBB35_42
; %bb.41:
	v_mul_u64_e32 v[0:1], s[4:5], v[0:1]
                                        ; implicit-def: $vgpr14_vgpr15
	v_mov_b32_e32 v9, v4
	s_delay_alu instid0(VALU_DEP_2) | instskip(SKIP_4) | instid1(VALU_DEP_1)
	v_lshl_add_u64 v[0:1], v[0:1], 3, v[12:13]
	v_xor_b32_e32 v12, 0x80000000, v3
	v_mov_b32_e32 v13, v2
	global_load_b64 v[10:11], v[0:1], off
	v_pk_mul_f32 v[12:13], v[6:7], v[12:13] op_sel:[1,0]
	v_pk_fma_f32 v[2:3], v[2:3], v[6:7], v[12:13] op_sel_hi:[1,0,1]
                                        ; implicit-def: $vgpr12_vgpr13
                                        ; implicit-def: $vgpr6_vgpr7
	s_wait_loadcnt 0x0
	s_delay_alu instid0(VALU_DEP_1) | instskip(NEXT) | instid1(VALU_DEP_1)
	v_pk_fma_f32 v[2:3], v[4:5], v[10:11], v[2:3] op_sel_hi:[1,0,1]
	v_pk_fma_f32 v[2:3], v[8:9], v[10:11], v[2:3] op_sel:[0,1,0]
                                        ; implicit-def: $vgpr9
	global_store_b64 v[0:1], v[2:3], off
                                        ; implicit-def: $vgpr0_vgpr1
                                        ; implicit-def: $vgpr2_vgpr3
.LBB35_42:
	s_wait_xcnt 0x0
	s_and_not1_saveexec_b32 s0, s0
	s_cbranch_execz .LBB35_47
; %bb.43:
	v_xor_b32_e32 v4, 0x80000000, v3
	v_mov_b32_e32 v5, v2
	v_cmp_ne_u32_e32 vcc_lo, 1, v9
	s_mov_b32 s0, -1
	s_delay_alu instid0(VALU_DEP_2) | instskip(NEXT) | instid1(VALU_DEP_1)
	v_pk_mul_f32 v[4:5], v[6:7], v[4:5] op_sel:[1,0]
	v_pk_fma_f32 v[2:3], v[2:3], v[6:7], v[4:5] op_sel_hi:[1,0,1]
	s_cbranch_vccnz .LBB35_45
; %bb.44:
	v_lshl_add_u64 v[4:5], v[0:1], 3, v[14:15]
	s_mov_b32 s0, 0
	global_store_b64 v[4:5], v[2:3], off
.LBB35_45:
	s_and_not1_b32 vcc_lo, exec_lo, s0
	s_cbranch_vccnz .LBB35_47
; %bb.46:
	v_mul_u64_e32 v[0:1], s[4:5], v[0:1]
	s_delay_alu instid0(VALU_DEP_1)
	v_lshl_add_u64 v[0:1], v[0:1], 3, v[12:13]
	global_store_b64 v[0:1], v[2:3], off
.LBB35_47:
	s_endpgm
	.section	.rodata,"a",@progbits
	.p2align	6, 0x0
	.amdhsa_kernel _ZN9rocsparseL31bsrmm_large_blockdim_kernel_extILj32ELj32ELj2Ell21rocsparse_complex_numIfES2_S2_S2_EEvb20rocsparse_direction_T3_S4_llNS_24const_host_device_scalarIT7_EEPKT2_PKS4_PKT4_S4_PKT5_llS7_PT6_ll16rocsparse_order_21rocsparse_index_base_b
		.amdhsa_group_segment_fixed_size 24576
		.amdhsa_private_segment_fixed_size 0
		.amdhsa_kernarg_size 148
		.amdhsa_user_sgpr_count 2
		.amdhsa_user_sgpr_dispatch_ptr 0
		.amdhsa_user_sgpr_queue_ptr 0
		.amdhsa_user_sgpr_kernarg_segment_ptr 1
		.amdhsa_user_sgpr_dispatch_id 0
		.amdhsa_user_sgpr_kernarg_preload_length 0
		.amdhsa_user_sgpr_kernarg_preload_offset 0
		.amdhsa_user_sgpr_private_segment_size 0
		.amdhsa_wavefront_size32 1
		.amdhsa_uses_dynamic_stack 0
		.amdhsa_enable_private_segment 0
		.amdhsa_system_sgpr_workgroup_id_x 1
		.amdhsa_system_sgpr_workgroup_id_y 1
		.amdhsa_system_sgpr_workgroup_id_z 0
		.amdhsa_system_sgpr_workgroup_info 0
		.amdhsa_system_vgpr_workitem_id 1
		.amdhsa_next_free_vgpr 36
		.amdhsa_next_free_sgpr 38
		.amdhsa_named_barrier_count 0
		.amdhsa_reserve_vcc 1
		.amdhsa_float_round_mode_32 0
		.amdhsa_float_round_mode_16_64 0
		.amdhsa_float_denorm_mode_32 3
		.amdhsa_float_denorm_mode_16_64 3
		.amdhsa_fp16_overflow 0
		.amdhsa_memory_ordered 1
		.amdhsa_forward_progress 1
		.amdhsa_inst_pref_size 17
		.amdhsa_round_robin_scheduling 0
		.amdhsa_exception_fp_ieee_invalid_op 0
		.amdhsa_exception_fp_denorm_src 0
		.amdhsa_exception_fp_ieee_div_zero 0
		.amdhsa_exception_fp_ieee_overflow 0
		.amdhsa_exception_fp_ieee_underflow 0
		.amdhsa_exception_fp_ieee_inexact 0
		.amdhsa_exception_int_div_zero 0
	.end_amdhsa_kernel
	.section	.text._ZN9rocsparseL31bsrmm_large_blockdim_kernel_extILj32ELj32ELj2Ell21rocsparse_complex_numIfES2_S2_S2_EEvb20rocsparse_direction_T3_S4_llNS_24const_host_device_scalarIT7_EEPKT2_PKS4_PKT4_S4_PKT5_llS7_PT6_ll16rocsparse_order_21rocsparse_index_base_b,"axG",@progbits,_ZN9rocsparseL31bsrmm_large_blockdim_kernel_extILj32ELj32ELj2Ell21rocsparse_complex_numIfES2_S2_S2_EEvb20rocsparse_direction_T3_S4_llNS_24const_host_device_scalarIT7_EEPKT2_PKS4_PKT4_S4_PKT5_llS7_PT6_ll16rocsparse_order_21rocsparse_index_base_b,comdat
.Lfunc_end35:
	.size	_ZN9rocsparseL31bsrmm_large_blockdim_kernel_extILj32ELj32ELj2Ell21rocsparse_complex_numIfES2_S2_S2_EEvb20rocsparse_direction_T3_S4_llNS_24const_host_device_scalarIT7_EEPKT2_PKS4_PKT4_S4_PKT5_llS7_PT6_ll16rocsparse_order_21rocsparse_index_base_b, .Lfunc_end35-_ZN9rocsparseL31bsrmm_large_blockdim_kernel_extILj32ELj32ELj2Ell21rocsparse_complex_numIfES2_S2_S2_EEvb20rocsparse_direction_T3_S4_llNS_24const_host_device_scalarIT7_EEPKT2_PKS4_PKT4_S4_PKT5_llS7_PT6_ll16rocsparse_order_21rocsparse_index_base_b
                                        ; -- End function
	.set _ZN9rocsparseL31bsrmm_large_blockdim_kernel_extILj32ELj32ELj2Ell21rocsparse_complex_numIfES2_S2_S2_EEvb20rocsparse_direction_T3_S4_llNS_24const_host_device_scalarIT7_EEPKT2_PKS4_PKT4_S4_PKT5_llS7_PT6_ll16rocsparse_order_21rocsparse_index_base_b.num_vgpr, 36
	.set _ZN9rocsparseL31bsrmm_large_blockdim_kernel_extILj32ELj32ELj2Ell21rocsparse_complex_numIfES2_S2_S2_EEvb20rocsparse_direction_T3_S4_llNS_24const_host_device_scalarIT7_EEPKT2_PKS4_PKT4_S4_PKT5_llS7_PT6_ll16rocsparse_order_21rocsparse_index_base_b.num_agpr, 0
	.set _ZN9rocsparseL31bsrmm_large_blockdim_kernel_extILj32ELj32ELj2Ell21rocsparse_complex_numIfES2_S2_S2_EEvb20rocsparse_direction_T3_S4_llNS_24const_host_device_scalarIT7_EEPKT2_PKS4_PKT4_S4_PKT5_llS7_PT6_ll16rocsparse_order_21rocsparse_index_base_b.numbered_sgpr, 38
	.set _ZN9rocsparseL31bsrmm_large_blockdim_kernel_extILj32ELj32ELj2Ell21rocsparse_complex_numIfES2_S2_S2_EEvb20rocsparse_direction_T3_S4_llNS_24const_host_device_scalarIT7_EEPKT2_PKS4_PKT4_S4_PKT5_llS7_PT6_ll16rocsparse_order_21rocsparse_index_base_b.num_named_barrier, 0
	.set _ZN9rocsparseL31bsrmm_large_blockdim_kernel_extILj32ELj32ELj2Ell21rocsparse_complex_numIfES2_S2_S2_EEvb20rocsparse_direction_T3_S4_llNS_24const_host_device_scalarIT7_EEPKT2_PKS4_PKT4_S4_PKT5_llS7_PT6_ll16rocsparse_order_21rocsparse_index_base_b.private_seg_size, 0
	.set _ZN9rocsparseL31bsrmm_large_blockdim_kernel_extILj32ELj32ELj2Ell21rocsparse_complex_numIfES2_S2_S2_EEvb20rocsparse_direction_T3_S4_llNS_24const_host_device_scalarIT7_EEPKT2_PKS4_PKT4_S4_PKT5_llS7_PT6_ll16rocsparse_order_21rocsparse_index_base_b.uses_vcc, 1
	.set _ZN9rocsparseL31bsrmm_large_blockdim_kernel_extILj32ELj32ELj2Ell21rocsparse_complex_numIfES2_S2_S2_EEvb20rocsparse_direction_T3_S4_llNS_24const_host_device_scalarIT7_EEPKT2_PKS4_PKT4_S4_PKT5_llS7_PT6_ll16rocsparse_order_21rocsparse_index_base_b.uses_flat_scratch, 1
	.set _ZN9rocsparseL31bsrmm_large_blockdim_kernel_extILj32ELj32ELj2Ell21rocsparse_complex_numIfES2_S2_S2_EEvb20rocsparse_direction_T3_S4_llNS_24const_host_device_scalarIT7_EEPKT2_PKS4_PKT4_S4_PKT5_llS7_PT6_ll16rocsparse_order_21rocsparse_index_base_b.has_dyn_sized_stack, 0
	.set _ZN9rocsparseL31bsrmm_large_blockdim_kernel_extILj32ELj32ELj2Ell21rocsparse_complex_numIfES2_S2_S2_EEvb20rocsparse_direction_T3_S4_llNS_24const_host_device_scalarIT7_EEPKT2_PKS4_PKT4_S4_PKT5_llS7_PT6_ll16rocsparse_order_21rocsparse_index_base_b.has_recursion, 0
	.set _ZN9rocsparseL31bsrmm_large_blockdim_kernel_extILj32ELj32ELj2Ell21rocsparse_complex_numIfES2_S2_S2_EEvb20rocsparse_direction_T3_S4_llNS_24const_host_device_scalarIT7_EEPKT2_PKS4_PKT4_S4_PKT5_llS7_PT6_ll16rocsparse_order_21rocsparse_index_base_b.has_indirect_call, 0
	.section	.AMDGPU.csdata,"",@progbits
; Kernel info:
; codeLenInByte = 2088
; TotalNumSgprs: 40
; NumVgprs: 36
; ScratchSize: 0
; MemoryBound: 0
; FloatMode: 240
; IeeeMode: 1
; LDSByteSize: 24576 bytes/workgroup (compile time only)
; SGPRBlocks: 0
; VGPRBlocks: 2
; NumSGPRsForWavesPerEU: 40
; NumVGPRsForWavesPerEU: 36
; NamedBarCnt: 0
; Occupancy: 16
; WaveLimiterHint : 1
; COMPUTE_PGM_RSRC2:SCRATCH_EN: 0
; COMPUTE_PGM_RSRC2:USER_SGPR: 2
; COMPUTE_PGM_RSRC2:TRAP_HANDLER: 0
; COMPUTE_PGM_RSRC2:TGID_X_EN: 1
; COMPUTE_PGM_RSRC2:TGID_Y_EN: 1
; COMPUTE_PGM_RSRC2:TGID_Z_EN: 0
; COMPUTE_PGM_RSRC2:TIDIG_COMP_CNT: 1
	.section	.text._ZN9rocsparseL31bsrmm_large_blockdim_kernel_extILj8ELj8ELj2Eii21rocsparse_complex_numIdES2_S2_S2_EEvb20rocsparse_direction_T3_S4_llNS_24const_host_device_scalarIT7_EEPKT2_PKS4_PKT4_S4_PKT5_llS7_PT6_ll16rocsparse_order_21rocsparse_index_base_b,"axG",@progbits,_ZN9rocsparseL31bsrmm_large_blockdim_kernel_extILj8ELj8ELj2Eii21rocsparse_complex_numIdES2_S2_S2_EEvb20rocsparse_direction_T3_S4_llNS_24const_host_device_scalarIT7_EEPKT2_PKS4_PKT4_S4_PKT5_llS7_PT6_ll16rocsparse_order_21rocsparse_index_base_b,comdat
	.globl	_ZN9rocsparseL31bsrmm_large_blockdim_kernel_extILj8ELj8ELj2Eii21rocsparse_complex_numIdES2_S2_S2_EEvb20rocsparse_direction_T3_S4_llNS_24const_host_device_scalarIT7_EEPKT2_PKS4_PKT4_S4_PKT5_llS7_PT6_ll16rocsparse_order_21rocsparse_index_base_b ; -- Begin function _ZN9rocsparseL31bsrmm_large_blockdim_kernel_extILj8ELj8ELj2Eii21rocsparse_complex_numIdES2_S2_S2_EEvb20rocsparse_direction_T3_S4_llNS_24const_host_device_scalarIT7_EEPKT2_PKS4_PKT4_S4_PKT5_llS7_PT6_ll16rocsparse_order_21rocsparse_index_base_b
	.p2align	8
	.type	_ZN9rocsparseL31bsrmm_large_blockdim_kernel_extILj8ELj8ELj2Eii21rocsparse_complex_numIdES2_S2_S2_EEvb20rocsparse_direction_T3_S4_llNS_24const_host_device_scalarIT7_EEPKT2_PKS4_PKT4_S4_PKT5_llS7_PT6_ll16rocsparse_order_21rocsparse_index_base_b,@function
_ZN9rocsparseL31bsrmm_large_blockdim_kernel_extILj8ELj8ELj2Eii21rocsparse_complex_numIdES2_S2_S2_EEvb20rocsparse_direction_T3_S4_llNS_24const_host_device_scalarIT7_EEPKT2_PKS4_PKT4_S4_PKT5_llS7_PT6_ll16rocsparse_order_21rocsparse_index_base_b: ; @_ZN9rocsparseL31bsrmm_large_blockdim_kernel_extILj8ELj8ELj2Eii21rocsparse_complex_numIdES2_S2_S2_EEvb20rocsparse_direction_T3_S4_llNS_24const_host_device_scalarIT7_EEPKT2_PKS4_PKT4_S4_PKT5_llS7_PT6_ll16rocsparse_order_21rocsparse_index_base_b
; %bb.0:
	s_clause 0x1
	s_load_b96 s[20:22], s[0:1], 0x90
	s_load_b64 s[2:3], s[0:1], 0x20
	v_mov_b32_e32 v1, 0
	s_add_nc_u64 s[4:5], s[0:1], 32
	s_load_b64 s[6:7], s[0:1], 0x68
	s_wait_kmcnt 0x0
	s_bitcmp1_b32 s22, 0
	s_cselect_b32 s3, s5, s3
	s_cselect_b32 s2, s4, s2
	flat_load_b128 v[2:5], v1, s[2:3]
	s_wait_xcnt 0x0
	s_add_nc_u64 s[2:3], s[0:1], 0x68
	s_delay_alu instid0(SALU_CYCLE_1)
	s_cselect_b32 s3, s3, s7
	s_cselect_b32 s2, s2, s6
	flat_load_b128 v[6:9], v1, s[2:3]
	s_wait_loadcnt_dscnt 0x101
	v_cmp_eq_f64_e32 vcc_lo, 0, v[2:3]
	s_wait_xcnt 0x0
	v_cmp_eq_f64_e64 s2, 0, v[4:5]
	s_and_b32 s4, vcc_lo, s2
	s_mov_b32 s2, -1
	s_and_saveexec_b32 s3, s4
	s_cbranch_execz .LBB36_2
; %bb.1:
	s_wait_loadcnt_dscnt 0x0
	v_cmp_neq_f64_e32 vcc_lo, 1.0, v[6:7]
	v_cmp_neq_f64_e64 s2, 0, v[8:9]
	s_or_b32 s2, vcc_lo, s2
	s_delay_alu instid0(SALU_CYCLE_1)
	s_or_not1_b32 s2, s2, exec_lo
.LBB36_2:
	s_or_b32 exec_lo, exec_lo, s3
	s_and_saveexec_b32 s3, s2
	s_cbranch_execz .LBB36_48
; %bb.3:
	s_clause 0x1
	s_load_b128 s[8:11], s[0:1], 0x0
	s_load_b64 s[2:3], s[0:1], 0x30
	s_bfe_u32 s4, ttmp6, 0x4000c
	s_and_b32 s5, ttmp6, 15
	s_add_co_i32 s4, s4, 1
	s_mov_b32 s25, 0
	s_mul_i32 s6, ttmp9, s4
	s_getreg_b32 s4, hwreg(HW_REG_IB_STS2, 6, 4)
	s_add_co_i32 s5, s5, s6
	s_cmp_eq_u32 s4, 0
	s_mov_b32 s22, 0
	s_cselect_b32 s6, ttmp9, s5
	s_wait_kmcnt 0x0
	s_cmp_lt_i32 s6, s10
	s_cselect_b32 s24, -1, 0
	s_cmp_ge_i32 s6, s10
	s_cbranch_scc1 .LBB36_5
; %bb.4:
	s_ashr_i32 s7, s6, 31
	s_delay_alu instid0(SALU_CYCLE_1) | instskip(NEXT) | instid1(SALU_CYCLE_1)
	s_lshl_b64 s[12:13], s[6:7], 2
	s_add_nc_u64 s[12:13], s[2:3], s[12:13]
	s_load_b32 s5, s[12:13], 0x0
	s_wait_kmcnt 0x0
	s_sub_co_i32 s22, s5, s21
.LBB36_5:
	s_and_not1_b32 vcc_lo, exec_lo, s24
	s_cbranch_vccnz .LBB36_7
; %bb.6:
	s_ashr_i32 s7, s6, 31
	s_delay_alu instid0(SALU_CYCLE_1) | instskip(NEXT) | instid1(SALU_CYCLE_1)
	s_lshl_b64 s[12:13], s[6:7], 2
	s_add_nc_u64 s[2:3], s[2:3], s[12:13]
	s_load_b32 s2, s[2:3], 0x4
	s_wait_kmcnt 0x0
	s_sub_co_i32 s25, s2, s21
.LBB36_7:
	s_bfe_u32 s2, ttmp6, 0x40010
	s_bfe_u32 s3, ttmp6, 0x40004
	s_add_co_i32 s2, s2, 1
	s_load_b32 s7, s[0:1], 0x48
	s_mul_i32 s2, ttmp7, s2
	v_bfe_u32 v24, v0, 10, 10
	s_add_co_i32 s3, s3, s2
	s_cmp_eq_u32 s4, 0
	v_and_b32_e32 v28, 0x3ff, v0
	s_cselect_b32 s2, ttmp7, s3
	v_mov_b64_e32 v[20:21], 0
	v_lshl_add_u32 v18, s2, 4, v24
	v_mov_b64_e32 v[12:13], 0
	v_mov_b64_e32 v[14:15], 0
	;; [unrolled: 1-line block ×3, first 2 shown]
	s_cmp_ge_i32 s22, s25
	v_add_nc_u32_e32 v0, 8, v18
	v_cmp_gt_i32_e64 s2, s11, v18
	s_delay_alu instid0(VALU_DEP_2)
	v_cmp_gt_i32_e64 s3, s11, v0
	s_wait_kmcnt 0x0
	v_cmp_gt_i32_e32 vcc_lo, s7, v28
	s_cbranch_scc1 .LBB36_25
; %bb.8:
	s_clause 0x1
	s_load_b128 s[12:15], s[0:1], 0x50
	s_load_b128 s[16:19], s[0:1], 0x38
	v_dual_ashrrev_i32 v19, 31, v18 :: v_dual_ashrrev_i32 v1, 31, v0
	v_cmp_gt_i32_e64 s4, s7, v24
	v_mad_u32 v25, s7, v24, v28
	v_mad_u32 v26, s7, v28, v24
	v_lshl_add_u32 v31, v28, 7, 0x800
	v_mov_b64_e32 v[16:17], 0
	s_and_b32 s10, vcc_lo, s4
	s_bitcmp1_b32 s8, 0
	v_mov_b64_e32 v[14:15], 0
	s_cselect_b32 s4, -1, 0
	s_cmp_eq_u32 s9, 0
	v_mov_b64_e32 v[12:13], 0
	s_cselect_b32 s5, -1, 0
	s_delay_alu instid0(SALU_CYCLE_1)
	v_dual_lshlrev_b32 v29, 7, v24 :: v_dual_cndmask_b32 v34, v25, v26, s5
	v_mov_b64_e32 v[20:21], 0
	v_lshl_add_u32 v32, v24, 4, v31
	s_wait_kmcnt 0x0
	v_mul_u64_e32 v[10:11], s[14:15], v[18:19]
	v_mul_u64_e32 v[22:23], s[14:15], v[0:1]
	v_lshl_add_u32 v30, v28, 4, v29
	v_add_nc_u32_e32 v35, 0x400, v29
	s_mul_i32 s5, s7, s7
	s_delay_alu instid0(VALU_DEP_2)
	v_add_nc_u32_e32 v33, 0x400, v30
	s_branch .LBB36_11
.LBB36_9:                               ;   in Loop: Header=BB36_11 Depth=1
	s_or_b32 exec_lo, exec_lo, s9
.LBB36_10:                              ;   in Loop: Header=BB36_11 Depth=1
	s_delay_alu instid0(SALU_CYCLE_1) | instskip(SKIP_1) | instid1(SALU_CYCLE_1)
	s_or_b32 exec_lo, exec_lo, s8
	s_add_co_i32 s22, s22, 1
	s_cmp_ge_i32 s22, s25
	s_barrier_signal -1
	s_barrier_wait -1
	s_cbranch_scc1 .LBB36_25
.LBB36_11:                              ; =>This Loop Header: Depth=1
                                        ;     Child Loop BB36_21 Depth 2
                                        ;     Child Loop BB36_24 Depth 2
	s_and_saveexec_b32 s8, vcc_lo
	s_cbranch_execz .LBB36_16
; %bb.12:                               ;   in Loop: Header=BB36_11 Depth=1
	s_ashr_i32 s23, s22, 31
	s_delay_alu instid0(SALU_CYCLE_1) | instskip(NEXT) | instid1(SALU_CYCLE_1)
	s_lshl_b64 s[26:27], s[22:23], 2
	s_add_nc_u64 s[26:27], s[16:17], s[26:27]
	s_load_b32 s9, s[26:27], 0x0
	s_wait_kmcnt 0x0
	s_sub_co_i32 s9, s9, s21
	s_delay_alu instid0(SALU_CYCLE_1) | instskip(NEXT) | instid1(VALU_DEP_1)
	v_mad_u32 v26, s9, s7, v28
	v_ashrrev_i32_e32 v27, 31, v26
	s_delay_alu instid0(VALU_DEP_1) | instskip(SKIP_1) | instid1(VALU_DEP_2)
	v_mul_u64_e32 v[24:25], s[14:15], v[26:27]
	v_lshl_add_u64 v[26:27], v[26:27], 4, s[12:13]
	v_lshl_add_u64 v[24:25], v[24:25], 4, s[12:13]
	s_and_saveexec_b32 s9, s2
	s_cbranch_execz .LBB36_14
; %bb.13:                               ;   in Loop: Header=BB36_11 Depth=1
	s_delay_alu instid0(VALU_DEP_2) | instskip(NEXT) | instid1(VALU_DEP_2)
	v_lshl_add_u64 v[36:37], v[10:11], 4, v[26:27]
	v_lshl_add_u64 v[38:39], v[18:19], 4, v[24:25]
	s_delay_alu instid0(VALU_DEP_1)
	v_dual_cndmask_b32 v37, v39, v37, s4 :: v_dual_cndmask_b32 v36, v38, v36, s4
	global_load_b128 v[36:39], v[36:37], off
	s_wait_loadcnt 0x0
	ds_store_2addr_b64 v30, v[36:37], v[38:39] offset1:1
.LBB36_14:                              ;   in Loop: Header=BB36_11 Depth=1
	s_or_b32 exec_lo, exec_lo, s9
	s_delay_alu instid0(SALU_CYCLE_1)
	s_and_b32 exec_lo, exec_lo, s3
	s_cbranch_execz .LBB36_16
; %bb.15:                               ;   in Loop: Header=BB36_11 Depth=1
	v_lshl_add_u64 v[26:27], v[22:23], 4, v[26:27]
	v_lshl_add_u64 v[24:25], v[0:1], 4, v[24:25]
	s_delay_alu instid0(VALU_DEP_1)
	v_dual_cndmask_b32 v25, v25, v27, s4 :: v_dual_cndmask_b32 v24, v24, v26, s4
	global_load_b128 v[24:27], v[24:25], off
	s_wait_loadcnt 0x0
	ds_store_2addr_b64 v33, v[24:25], v[26:27] offset1:1
.LBB36_16:                              ;   in Loop: Header=BB36_11 Depth=1
	s_or_b32 exec_lo, exec_lo, s8
	s_and_saveexec_b32 s8, s10
	s_cbranch_execz .LBB36_18
; %bb.17:                               ;   in Loop: Header=BB36_11 Depth=1
	v_mad_u32 v24, s5, s22, v34
	global_load_b128 v[24:27], v24, s[18:19] scale_offset
	s_wait_loadcnt 0x0
	ds_store_2addr_b64 v32, v[24:25], v[26:27] offset1:1
.LBB36_18:                              ;   in Loop: Header=BB36_11 Depth=1
	s_or_b32 exec_lo, exec_lo, s8
	s_wait_loadcnt_dscnt 0x0
	s_barrier_signal -1
	s_barrier_wait -1
	s_and_saveexec_b32 s8, vcc_lo
	s_cbranch_execz .LBB36_10
; %bb.19:                               ;   in Loop: Header=BB36_11 Depth=1
	s_and_saveexec_b32 s9, s2
	s_cbranch_execz .LBB36_22
; %bb.20:                               ;   in Loop: Header=BB36_11 Depth=1
	v_dual_mov_b32 v24, v31 :: v_dual_mov_b32 v25, v29
	s_mov_b32 s23, s7
.LBB36_21:                              ;   Parent Loop BB36_11 Depth=1
                                        ; =>  This Inner Loop Header: Depth=2
	ds_load_b128 v[36:39], v24
	ds_load_b128 v[40:43], v25
	v_add_nc_u32_e32 v24, 16, v24
	s_add_co_i32 s23, s23, -1
	v_add_nc_u32_e32 v25, 16, v25
	s_cmp_lg_u32 s23, 0
	s_wait_dscnt 0x0
	v_fmac_f64_e32 v[20:21], v[36:37], v[40:41]
	v_fmac_f64_e32 v[12:13], v[38:39], v[40:41]
	s_delay_alu instid0(VALU_DEP_2) | instskip(NEXT) | instid1(VALU_DEP_2)
	v_fma_f64 v[20:21], -v[38:39], v[42:43], v[20:21]
	v_fmac_f64_e32 v[12:13], v[36:37], v[42:43]
	s_cbranch_scc1 .LBB36_21
.LBB36_22:                              ;   in Loop: Header=BB36_11 Depth=1
	s_or_b32 exec_lo, exec_lo, s9
	s_and_saveexec_b32 s9, s3
	s_cbranch_execz .LBB36_9
; %bb.23:                               ;   in Loop: Header=BB36_11 Depth=1
	v_dual_mov_b32 v24, v31 :: v_dual_mov_b32 v25, v35
	s_mov_b32 s23, s7
.LBB36_24:                              ;   Parent Loop BB36_11 Depth=1
                                        ; =>  This Inner Loop Header: Depth=2
	ds_load_b128 v[36:39], v24
	ds_load_b128 v[40:43], v25
	v_add_nc_u32_e32 v24, 16, v24
	s_add_co_i32 s23, s23, -1
	v_add_nc_u32_e32 v25, 16, v25
	s_cmp_lg_u32 s23, 0
	s_wait_dscnt 0x0
	v_fmac_f64_e32 v[14:15], v[36:37], v[40:41]
	v_fmac_f64_e32 v[16:17], v[38:39], v[40:41]
	s_delay_alu instid0(VALU_DEP_2) | instskip(NEXT) | instid1(VALU_DEP_2)
	v_fma_f64 v[14:15], -v[38:39], v[42:43], v[14:15]
	v_fmac_f64_e32 v[16:17], v[36:37], v[42:43]
	s_cbranch_scc1 .LBB36_24
	s_branch .LBB36_9
.LBB36_25:
	s_load_b64 s[4:5], s[0:1], 0x78
	s_and_b32 s2, s24, vcc_lo
	s_delay_alu instid0(SALU_CYCLE_1)
	s_and_b32 exec_lo, exec_lo, s2
	s_cbranch_execz .LBB36_48
; %bb.26:
	s_load_b64 s[2:3], s[0:1], 0x80
	v_mad_u32 v10, s7, s6, v28
	s_wait_loadcnt_dscnt 0x0
	v_cmp_neq_f64_e32 vcc_lo, 0, v[6:7]
	s_wait_xcnt 0x0
	v_cmp_neq_f64_e64 s0, 0, v[8:9]
	s_delay_alu instid0(VALU_DEP_3) | instskip(SKIP_1) | instid1(VALU_DEP_1)
	v_ashrrev_i32_e32 v11, 31, v10
	s_wait_kmcnt 0x0
	v_lshl_add_u64 v[22:23], v[10:11], 4, s[4:5]
	v_mul_u64_e32 v[24:25], s[2:3], v[10:11]
	s_or_b32 s0, vcc_lo, s0
	s_cmp_lg_u32 s20, 1
	s_cselect_b32 s1, -1, 0
	s_delay_alu instid0(VALU_DEP_1)
	v_lshl_add_u64 v[24:25], v[24:25], 4, s[4:5]
	s_mov_b32 s4, exec_lo
	v_cmpx_gt_i32_e64 s11, v18
	s_cbranch_execz .LBB36_37
; %bb.27:
	v_ashrrev_i32_e32 v19, 31, v18
	s_and_saveexec_b32 s5, s0
	s_delay_alu instid0(SALU_CYCLE_1)
	s_xor_b32 s5, exec_lo, s5
	s_cbranch_execz .LBB36_32
; %bb.28:
	s_and_b32 vcc_lo, exec_lo, s1
	s_mov_b32 s6, -1
	s_cbranch_vccz .LBB36_30
; %bb.29:
	v_lshl_add_u64 v[10:11], v[18:19], 4, v[24:25]
	v_mul_f64_e64 v[30:31], v[12:13], -v[4:5]
	v_mul_f64_e32 v[32:33], v[2:3], v[12:13]
	s_mov_b32 s6, 0
	global_load_b128 v[26:29], v[10:11], off
	v_fmac_f64_e32 v[30:31], v[2:3], v[20:21]
	v_fmac_f64_e32 v[32:33], v[4:5], v[20:21]
	s_wait_loadcnt 0x0
	s_delay_alu instid0(VALU_DEP_2) | instskip(NEXT) | instid1(VALU_DEP_2)
	v_fmac_f64_e32 v[30:31], v[6:7], v[26:27]
	v_fmac_f64_e32 v[32:33], v[8:9], v[26:27]
	s_delay_alu instid0(VALU_DEP_2) | instskip(NEXT) | instid1(VALU_DEP_2)
	v_fma_f64 v[30:31], -v[8:9], v[28:29], v[30:31]
	v_fmac_f64_e32 v[32:33], v[6:7], v[28:29]
	global_store_b128 v[10:11], v[30:33], off
.LBB36_30:
	s_and_not1_b32 vcc_lo, exec_lo, s6
	s_cbranch_vccnz .LBB36_32
; %bb.31:
	s_wait_xcnt 0x0
	v_mul_u64_e32 v[10:11], s[2:3], v[18:19]
	s_delay_alu instid0(VALU_DEP_1)
	v_lshl_add_u64 v[18:19], v[10:11], 4, v[22:23]
	v_mul_f64_e64 v[10:11], v[12:13], -v[4:5]
	v_mul_f64_e32 v[12:13], v[2:3], v[12:13]
	global_load_b128 v[26:29], v[18:19], off
	v_fmac_f64_e32 v[10:11], v[2:3], v[20:21]
	v_fmac_f64_e32 v[12:13], v[4:5], v[20:21]
                                        ; implicit-def: $vgpr20_vgpr21
	s_wait_loadcnt 0x0
	s_delay_alu instid0(VALU_DEP_2) | instskip(NEXT) | instid1(VALU_DEP_2)
	v_fmac_f64_e32 v[10:11], v[6:7], v[26:27]
	v_fmac_f64_e32 v[12:13], v[8:9], v[26:27]
	s_delay_alu instid0(VALU_DEP_2) | instskip(NEXT) | instid1(VALU_DEP_2)
	v_fma_f64 v[10:11], -v[8:9], v[28:29], v[10:11]
	v_fmac_f64_e32 v[12:13], v[6:7], v[28:29]
	global_store_b128 v[18:19], v[10:13], off
                                        ; implicit-def: $vgpr12_vgpr13
                                        ; implicit-def: $vgpr18
.LBB36_32:
	s_wait_xcnt 0x0
	s_and_not1_saveexec_b32 s5, s5
	s_cbranch_execz .LBB36_37
; %bb.33:
	v_mul_f64_e64 v[10:11], v[12:13], -v[4:5]
	v_mul_f64_e32 v[12:13], v[2:3], v[12:13]
	s_and_b32 vcc_lo, exec_lo, s1
	s_mov_b32 s5, -1
	s_delay_alu instid0(VALU_DEP_2) | instskip(NEXT) | instid1(VALU_DEP_2)
	v_fmac_f64_e32 v[10:11], v[2:3], v[20:21]
	v_fmac_f64_e32 v[12:13], v[4:5], v[20:21]
	s_cbranch_vccz .LBB36_35
; %bb.34:
	v_lshl_add_u64 v[20:21], v[18:19], 4, v[24:25]
	s_mov_b32 s5, 0
	global_store_b128 v[20:21], v[10:13], off
.LBB36_35:
	s_and_not1_b32 vcc_lo, exec_lo, s5
	s_cbranch_vccnz .LBB36_37
; %bb.36:
	v_mul_u64_e32 v[18:19], s[2:3], v[18:19]
	s_delay_alu instid0(VALU_DEP_1)
	v_lshl_add_u64 v[18:19], v[18:19], 4, v[22:23]
	global_store_b128 v[18:19], v[10:13], off
.LBB36_37:
	s_wait_xcnt 0x0
	s_or_b32 exec_lo, exec_lo, s4
	v_cmp_gt_i32_e32 vcc_lo, s11, v0
	s_and_b32 exec_lo, exec_lo, vcc_lo
	s_cbranch_execz .LBB36_48
; %bb.38:
	v_ashrrev_i32_e32 v1, 31, v0
	v_cndmask_b32_e64 v10, 0, 1, s1
	s_and_saveexec_b32 s1, s0
	s_delay_alu instid0(SALU_CYCLE_1)
	s_xor_b32 s0, exec_lo, s1
	s_cbranch_execz .LBB36_43
; %bb.39:
	s_delay_alu instid0(VALU_DEP_1)
	v_cmp_ne_u32_e32 vcc_lo, 1, v10
	s_mov_b32 s1, -1
	s_cbranch_vccnz .LBB36_41
; %bb.40:
	v_lshl_add_u64 v[24:25], v[0:1], 4, v[24:25]
	v_mul_f64_e64 v[18:19], v[16:17], -v[4:5]
	v_mul_f64_e32 v[20:21], v[2:3], v[16:17]
	s_mov_b32 s1, 0
	global_load_b128 v[10:13], v[24:25], off
	v_fmac_f64_e32 v[18:19], v[2:3], v[14:15]
	v_fmac_f64_e32 v[20:21], v[4:5], v[14:15]
	s_wait_loadcnt 0x0
	s_delay_alu instid0(VALU_DEP_2) | instskip(NEXT) | instid1(VALU_DEP_2)
	v_fmac_f64_e32 v[18:19], v[6:7], v[10:11]
	v_fmac_f64_e32 v[20:21], v[8:9], v[10:11]
	s_delay_alu instid0(VALU_DEP_2) | instskip(NEXT) | instid1(VALU_DEP_2)
	v_fma_f64 v[18:19], -v[8:9], v[12:13], v[18:19]
	v_fmac_f64_e32 v[20:21], v[6:7], v[12:13]
	global_store_b128 v[24:25], v[18:21], off
.LBB36_41:
	s_and_not1_b32 vcc_lo, exec_lo, s1
                                        ; implicit-def: $vgpr24_vgpr25
                                        ; implicit-def: $vgpr10
	s_cbranch_vccnz .LBB36_43
; %bb.42:
	v_mul_u64_e32 v[0:1], s[2:3], v[0:1]
	s_wait_xcnt 0x0
	v_mul_f64_e64 v[18:19], v[16:17], -v[4:5]
	v_mul_f64_e32 v[16:17], v[2:3], v[16:17]
                                        ; implicit-def: $vgpr24_vgpr25
	s_delay_alu instid0(VALU_DEP_3) | instskip(NEXT) | instid1(VALU_DEP_3)
	v_lshl_add_u64 v[0:1], v[0:1], 4, v[22:23]
	v_fmac_f64_e32 v[18:19], v[2:3], v[14:15]
	s_delay_alu instid0(VALU_DEP_3) | instskip(SKIP_4) | instid1(VALU_DEP_2)
	v_fmac_f64_e32 v[16:17], v[4:5], v[14:15]
                                        ; implicit-def: $vgpr22_vgpr23
                                        ; implicit-def: $vgpr4_vgpr5
	global_load_b128 v[10:13], v[0:1], off
	s_wait_loadcnt 0x0
	v_fmac_f64_e32 v[18:19], v[6:7], v[10:11]
	v_fmac_f64_e32 v[16:17], v[8:9], v[10:11]
                                        ; implicit-def: $vgpr10
	v_fma_f64 v[14:15], -v[8:9], v[12:13], v[18:19]
	s_delay_alu instid0(VALU_DEP_2)
	v_fmac_f64_e32 v[16:17], v[6:7], v[12:13]
	global_store_b128 v[0:1], v[14:17], off
                                        ; implicit-def: $vgpr0
                                        ; implicit-def: $vgpr14_vgpr15
                                        ; implicit-def: $vgpr16_vgpr17
.LBB36_43:
	s_wait_xcnt 0x0
	s_and_not1_saveexec_b32 s0, s0
	s_cbranch_execz .LBB36_48
; %bb.44:
	v_mul_f64_e64 v[6:7], v[16:17], -v[4:5]
	v_mul_f64_e32 v[8:9], v[2:3], v[16:17]
	v_cmp_ne_u32_e32 vcc_lo, 1, v10
	s_mov_b32 s0, -1
	s_delay_alu instid0(VALU_DEP_3) | instskip(NEXT) | instid1(VALU_DEP_3)
	v_fmac_f64_e32 v[6:7], v[2:3], v[14:15]
	v_fmac_f64_e32 v[8:9], v[4:5], v[14:15]
	s_cbranch_vccnz .LBB36_46
; %bb.45:
	v_lshl_add_u64 v[2:3], v[0:1], 4, v[24:25]
	s_mov_b32 s0, 0
	global_store_b128 v[2:3], v[6:9], off
.LBB36_46:
	s_and_not1_b32 vcc_lo, exec_lo, s0
	s_cbranch_vccnz .LBB36_48
; %bb.47:
	v_mul_u64_e32 v[0:1], s[2:3], v[0:1]
	s_delay_alu instid0(VALU_DEP_1)
	v_lshl_add_u64 v[0:1], v[0:1], 4, v[22:23]
	global_store_b128 v[0:1], v[6:9], off
.LBB36_48:
	s_endpgm
	.section	.rodata,"a",@progbits
	.p2align	6, 0x0
	.amdhsa_kernel _ZN9rocsparseL31bsrmm_large_blockdim_kernel_extILj8ELj8ELj2Eii21rocsparse_complex_numIdES2_S2_S2_EEvb20rocsparse_direction_T3_S4_llNS_24const_host_device_scalarIT7_EEPKT2_PKS4_PKT4_S4_PKT5_llS7_PT6_ll16rocsparse_order_21rocsparse_index_base_b
		.amdhsa_group_segment_fixed_size 3072
		.amdhsa_private_segment_fixed_size 0
		.amdhsa_kernarg_size 156
		.amdhsa_user_sgpr_count 2
		.amdhsa_user_sgpr_dispatch_ptr 0
		.amdhsa_user_sgpr_queue_ptr 0
		.amdhsa_user_sgpr_kernarg_segment_ptr 1
		.amdhsa_user_sgpr_dispatch_id 0
		.amdhsa_user_sgpr_kernarg_preload_length 0
		.amdhsa_user_sgpr_kernarg_preload_offset 0
		.amdhsa_user_sgpr_private_segment_size 0
		.amdhsa_wavefront_size32 1
		.amdhsa_uses_dynamic_stack 0
		.amdhsa_enable_private_segment 0
		.amdhsa_system_sgpr_workgroup_id_x 1
		.amdhsa_system_sgpr_workgroup_id_y 1
		.amdhsa_system_sgpr_workgroup_id_z 0
		.amdhsa_system_sgpr_workgroup_info 0
		.amdhsa_system_vgpr_workitem_id 1
		.amdhsa_next_free_vgpr 44
		.amdhsa_next_free_sgpr 28
		.amdhsa_named_barrier_count 0
		.amdhsa_reserve_vcc 1
		.amdhsa_float_round_mode_32 0
		.amdhsa_float_round_mode_16_64 0
		.amdhsa_float_denorm_mode_32 3
		.amdhsa_float_denorm_mode_16_64 3
		.amdhsa_fp16_overflow 0
		.amdhsa_memory_ordered 1
		.amdhsa_forward_progress 1
		.amdhsa_inst_pref_size 16
		.amdhsa_round_robin_scheduling 0
		.amdhsa_exception_fp_ieee_invalid_op 0
		.amdhsa_exception_fp_denorm_src 0
		.amdhsa_exception_fp_ieee_div_zero 0
		.amdhsa_exception_fp_ieee_overflow 0
		.amdhsa_exception_fp_ieee_underflow 0
		.amdhsa_exception_fp_ieee_inexact 0
		.amdhsa_exception_int_div_zero 0
	.end_amdhsa_kernel
	.section	.text._ZN9rocsparseL31bsrmm_large_blockdim_kernel_extILj8ELj8ELj2Eii21rocsparse_complex_numIdES2_S2_S2_EEvb20rocsparse_direction_T3_S4_llNS_24const_host_device_scalarIT7_EEPKT2_PKS4_PKT4_S4_PKT5_llS7_PT6_ll16rocsparse_order_21rocsparse_index_base_b,"axG",@progbits,_ZN9rocsparseL31bsrmm_large_blockdim_kernel_extILj8ELj8ELj2Eii21rocsparse_complex_numIdES2_S2_S2_EEvb20rocsparse_direction_T3_S4_llNS_24const_host_device_scalarIT7_EEPKT2_PKS4_PKT4_S4_PKT5_llS7_PT6_ll16rocsparse_order_21rocsparse_index_base_b,comdat
.Lfunc_end36:
	.size	_ZN9rocsparseL31bsrmm_large_blockdim_kernel_extILj8ELj8ELj2Eii21rocsparse_complex_numIdES2_S2_S2_EEvb20rocsparse_direction_T3_S4_llNS_24const_host_device_scalarIT7_EEPKT2_PKS4_PKT4_S4_PKT5_llS7_PT6_ll16rocsparse_order_21rocsparse_index_base_b, .Lfunc_end36-_ZN9rocsparseL31bsrmm_large_blockdim_kernel_extILj8ELj8ELj2Eii21rocsparse_complex_numIdES2_S2_S2_EEvb20rocsparse_direction_T3_S4_llNS_24const_host_device_scalarIT7_EEPKT2_PKS4_PKT4_S4_PKT5_llS7_PT6_ll16rocsparse_order_21rocsparse_index_base_b
                                        ; -- End function
	.set _ZN9rocsparseL31bsrmm_large_blockdim_kernel_extILj8ELj8ELj2Eii21rocsparse_complex_numIdES2_S2_S2_EEvb20rocsparse_direction_T3_S4_llNS_24const_host_device_scalarIT7_EEPKT2_PKS4_PKT4_S4_PKT5_llS7_PT6_ll16rocsparse_order_21rocsparse_index_base_b.num_vgpr, 44
	.set _ZN9rocsparseL31bsrmm_large_blockdim_kernel_extILj8ELj8ELj2Eii21rocsparse_complex_numIdES2_S2_S2_EEvb20rocsparse_direction_T3_S4_llNS_24const_host_device_scalarIT7_EEPKT2_PKS4_PKT4_S4_PKT5_llS7_PT6_ll16rocsparse_order_21rocsparse_index_base_b.num_agpr, 0
	.set _ZN9rocsparseL31bsrmm_large_blockdim_kernel_extILj8ELj8ELj2Eii21rocsparse_complex_numIdES2_S2_S2_EEvb20rocsparse_direction_T3_S4_llNS_24const_host_device_scalarIT7_EEPKT2_PKS4_PKT4_S4_PKT5_llS7_PT6_ll16rocsparse_order_21rocsparse_index_base_b.numbered_sgpr, 28
	.set _ZN9rocsparseL31bsrmm_large_blockdim_kernel_extILj8ELj8ELj2Eii21rocsparse_complex_numIdES2_S2_S2_EEvb20rocsparse_direction_T3_S4_llNS_24const_host_device_scalarIT7_EEPKT2_PKS4_PKT4_S4_PKT5_llS7_PT6_ll16rocsparse_order_21rocsparse_index_base_b.num_named_barrier, 0
	.set _ZN9rocsparseL31bsrmm_large_blockdim_kernel_extILj8ELj8ELj2Eii21rocsparse_complex_numIdES2_S2_S2_EEvb20rocsparse_direction_T3_S4_llNS_24const_host_device_scalarIT7_EEPKT2_PKS4_PKT4_S4_PKT5_llS7_PT6_ll16rocsparse_order_21rocsparse_index_base_b.private_seg_size, 0
	.set _ZN9rocsparseL31bsrmm_large_blockdim_kernel_extILj8ELj8ELj2Eii21rocsparse_complex_numIdES2_S2_S2_EEvb20rocsparse_direction_T3_S4_llNS_24const_host_device_scalarIT7_EEPKT2_PKS4_PKT4_S4_PKT5_llS7_PT6_ll16rocsparse_order_21rocsparse_index_base_b.uses_vcc, 1
	.set _ZN9rocsparseL31bsrmm_large_blockdim_kernel_extILj8ELj8ELj2Eii21rocsparse_complex_numIdES2_S2_S2_EEvb20rocsparse_direction_T3_S4_llNS_24const_host_device_scalarIT7_EEPKT2_PKS4_PKT4_S4_PKT5_llS7_PT6_ll16rocsparse_order_21rocsparse_index_base_b.uses_flat_scratch, 0
	.set _ZN9rocsparseL31bsrmm_large_blockdim_kernel_extILj8ELj8ELj2Eii21rocsparse_complex_numIdES2_S2_S2_EEvb20rocsparse_direction_T3_S4_llNS_24const_host_device_scalarIT7_EEPKT2_PKS4_PKT4_S4_PKT5_llS7_PT6_ll16rocsparse_order_21rocsparse_index_base_b.has_dyn_sized_stack, 0
	.set _ZN9rocsparseL31bsrmm_large_blockdim_kernel_extILj8ELj8ELj2Eii21rocsparse_complex_numIdES2_S2_S2_EEvb20rocsparse_direction_T3_S4_llNS_24const_host_device_scalarIT7_EEPKT2_PKS4_PKT4_S4_PKT5_llS7_PT6_ll16rocsparse_order_21rocsparse_index_base_b.has_recursion, 0
	.set _ZN9rocsparseL31bsrmm_large_blockdim_kernel_extILj8ELj8ELj2Eii21rocsparse_complex_numIdES2_S2_S2_EEvb20rocsparse_direction_T3_S4_llNS_24const_host_device_scalarIT7_EEPKT2_PKS4_PKT4_S4_PKT5_llS7_PT6_ll16rocsparse_order_21rocsparse_index_base_b.has_indirect_call, 0
	.section	.AMDGPU.csdata,"",@progbits
; Kernel info:
; codeLenInByte = 1952
; TotalNumSgprs: 30
; NumVgprs: 44
; ScratchSize: 0
; MemoryBound: 0
; FloatMode: 240
; IeeeMode: 1
; LDSByteSize: 3072 bytes/workgroup (compile time only)
; SGPRBlocks: 0
; VGPRBlocks: 2
; NumSGPRsForWavesPerEU: 30
; NumVGPRsForWavesPerEU: 44
; NamedBarCnt: 0
; Occupancy: 16
; WaveLimiterHint : 0
; COMPUTE_PGM_RSRC2:SCRATCH_EN: 0
; COMPUTE_PGM_RSRC2:USER_SGPR: 2
; COMPUTE_PGM_RSRC2:TRAP_HANDLER: 0
; COMPUTE_PGM_RSRC2:TGID_X_EN: 1
; COMPUTE_PGM_RSRC2:TGID_Y_EN: 1
; COMPUTE_PGM_RSRC2:TGID_Z_EN: 0
; COMPUTE_PGM_RSRC2:TIDIG_COMP_CNT: 1
	.section	.text._ZN9rocsparseL31bsrmm_large_blockdim_kernel_extILj4ELj16ELj2Eii21rocsparse_complex_numIdES2_S2_S2_EEvb20rocsparse_direction_T3_S4_llNS_24const_host_device_scalarIT7_EEPKT2_PKS4_PKT4_S4_PKT5_llS7_PT6_ll16rocsparse_order_21rocsparse_index_base_b,"axG",@progbits,_ZN9rocsparseL31bsrmm_large_blockdim_kernel_extILj4ELj16ELj2Eii21rocsparse_complex_numIdES2_S2_S2_EEvb20rocsparse_direction_T3_S4_llNS_24const_host_device_scalarIT7_EEPKT2_PKS4_PKT4_S4_PKT5_llS7_PT6_ll16rocsparse_order_21rocsparse_index_base_b,comdat
	.globl	_ZN9rocsparseL31bsrmm_large_blockdim_kernel_extILj4ELj16ELj2Eii21rocsparse_complex_numIdES2_S2_S2_EEvb20rocsparse_direction_T3_S4_llNS_24const_host_device_scalarIT7_EEPKT2_PKS4_PKT4_S4_PKT5_llS7_PT6_ll16rocsparse_order_21rocsparse_index_base_b ; -- Begin function _ZN9rocsparseL31bsrmm_large_blockdim_kernel_extILj4ELj16ELj2Eii21rocsparse_complex_numIdES2_S2_S2_EEvb20rocsparse_direction_T3_S4_llNS_24const_host_device_scalarIT7_EEPKT2_PKS4_PKT4_S4_PKT5_llS7_PT6_ll16rocsparse_order_21rocsparse_index_base_b
	.p2align	8
	.type	_ZN9rocsparseL31bsrmm_large_blockdim_kernel_extILj4ELj16ELj2Eii21rocsparse_complex_numIdES2_S2_S2_EEvb20rocsparse_direction_T3_S4_llNS_24const_host_device_scalarIT7_EEPKT2_PKS4_PKT4_S4_PKT5_llS7_PT6_ll16rocsparse_order_21rocsparse_index_base_b,@function
_ZN9rocsparseL31bsrmm_large_blockdim_kernel_extILj4ELj16ELj2Eii21rocsparse_complex_numIdES2_S2_S2_EEvb20rocsparse_direction_T3_S4_llNS_24const_host_device_scalarIT7_EEPKT2_PKS4_PKT4_S4_PKT5_llS7_PT6_ll16rocsparse_order_21rocsparse_index_base_b: ; @_ZN9rocsparseL31bsrmm_large_blockdim_kernel_extILj4ELj16ELj2Eii21rocsparse_complex_numIdES2_S2_S2_EEvb20rocsparse_direction_T3_S4_llNS_24const_host_device_scalarIT7_EEPKT2_PKS4_PKT4_S4_PKT5_llS7_PT6_ll16rocsparse_order_21rocsparse_index_base_b
; %bb.0:
	s_clause 0x1
	s_load_b96 s[20:22], s[0:1], 0x90
	s_load_b64 s[2:3], s[0:1], 0x20
	v_mov_b32_e32 v1, 0
	s_add_nc_u64 s[4:5], s[0:1], 32
	s_load_b64 s[6:7], s[0:1], 0x68
	s_wait_kmcnt 0x0
	s_bitcmp1_b32 s22, 0
	s_cselect_b32 s3, s5, s3
	s_cselect_b32 s2, s4, s2
	flat_load_b128 v[2:5], v1, s[2:3]
	s_wait_xcnt 0x0
	s_add_nc_u64 s[2:3], s[0:1], 0x68
	s_delay_alu instid0(SALU_CYCLE_1)
	s_cselect_b32 s3, s3, s7
	s_cselect_b32 s2, s2, s6
	flat_load_b128 v[6:9], v1, s[2:3]
	s_wait_loadcnt_dscnt 0x101
	v_cmp_eq_f64_e32 vcc_lo, 0, v[2:3]
	s_wait_xcnt 0x0
	v_cmp_eq_f64_e64 s2, 0, v[4:5]
	s_and_b32 s4, vcc_lo, s2
	s_mov_b32 s2, -1
	s_and_saveexec_b32 s3, s4
	s_cbranch_execz .LBB37_2
; %bb.1:
	s_wait_loadcnt_dscnt 0x0
	v_cmp_neq_f64_e32 vcc_lo, 1.0, v[6:7]
	v_cmp_neq_f64_e64 s2, 0, v[8:9]
	s_or_b32 s2, vcc_lo, s2
	s_delay_alu instid0(SALU_CYCLE_1)
	s_or_not1_b32 s2, s2, exec_lo
.LBB37_2:
	s_or_b32 exec_lo, exec_lo, s3
	s_and_saveexec_b32 s3, s2
	s_cbranch_execz .LBB37_48
; %bb.3:
	s_clause 0x1
	s_load_b128 s[8:11], s[0:1], 0x0
	s_load_b64 s[2:3], s[0:1], 0x30
	s_bfe_u32 s4, ttmp6, 0x4000c
	s_and_b32 s5, ttmp6, 15
	s_add_co_i32 s4, s4, 1
	s_mov_b32 s25, 0
	s_mul_i32 s6, ttmp9, s4
	s_getreg_b32 s4, hwreg(HW_REG_IB_STS2, 6, 4)
	s_add_co_i32 s5, s5, s6
	s_cmp_eq_u32 s4, 0
	s_mov_b32 s22, 0
	s_cselect_b32 s6, ttmp9, s5
	s_wait_kmcnt 0x0
	s_cmp_lt_i32 s6, s10
	s_cselect_b32 s24, -1, 0
	s_cmp_ge_i32 s6, s10
	s_cbranch_scc1 .LBB37_5
; %bb.4:
	s_ashr_i32 s7, s6, 31
	s_delay_alu instid0(SALU_CYCLE_1) | instskip(NEXT) | instid1(SALU_CYCLE_1)
	s_lshl_b64 s[12:13], s[6:7], 2
	s_add_nc_u64 s[12:13], s[2:3], s[12:13]
	s_load_b32 s5, s[12:13], 0x0
	s_wait_kmcnt 0x0
	s_sub_co_i32 s22, s5, s21
.LBB37_5:
	s_and_not1_b32 vcc_lo, exec_lo, s24
	s_cbranch_vccnz .LBB37_7
; %bb.6:
	s_ashr_i32 s7, s6, 31
	s_delay_alu instid0(SALU_CYCLE_1) | instskip(NEXT) | instid1(SALU_CYCLE_1)
	s_lshl_b64 s[12:13], s[6:7], 2
	s_add_nc_u64 s[2:3], s[2:3], s[12:13]
	s_load_b32 s2, s[2:3], 0x4
	s_wait_kmcnt 0x0
	s_sub_co_i32 s25, s2, s21
.LBB37_7:
	s_bfe_u32 s2, ttmp6, 0x40010
	s_bfe_u32 s3, ttmp6, 0x40004
	s_add_co_i32 s2, s2, 1
	s_load_b32 s7, s[0:1], 0x48
	s_mul_i32 s2, ttmp7, s2
	v_bfe_u32 v24, v0, 10, 10
	s_add_co_i32 s3, s3, s2
	s_cmp_eq_u32 s4, 0
	v_and_b32_e32 v28, 0x3ff, v0
	s_cselect_b32 s2, ttmp7, s3
	v_mov_b64_e32 v[20:21], 0
	v_lshl_add_u32 v18, s2, 5, v24
	v_mov_b64_e32 v[12:13], 0
	v_mov_b64_e32 v[14:15], 0
	;; [unrolled: 1-line block ×3, first 2 shown]
	s_cmp_ge_i32 s22, s25
	v_add_nc_u32_e32 v0, 16, v18
	v_cmp_gt_i32_e64 s2, s11, v18
	s_delay_alu instid0(VALU_DEP_2)
	v_cmp_gt_i32_e64 s3, s11, v0
	s_wait_kmcnt 0x0
	v_cmp_gt_i32_e32 vcc_lo, s7, v28
	s_cbranch_scc1 .LBB37_25
; %bb.8:
	s_clause 0x1
	s_load_b128 s[12:15], s[0:1], 0x50
	s_load_b128 s[16:19], s[0:1], 0x38
	v_dual_ashrrev_i32 v19, 31, v18 :: v_dual_ashrrev_i32 v1, 31, v0
	v_cmp_gt_i32_e64 s4, s7, v24
	v_mad_u32 v25, s7, v24, v28
	v_mad_u32 v26, s7, v28, v24
	v_lshl_add_u32 v31, v28, 6, 0x800
	v_mov_b64_e32 v[16:17], 0
	s_and_b32 s10, vcc_lo, s4
	s_bitcmp1_b32 s8, 0
	v_mov_b64_e32 v[14:15], 0
	s_cselect_b32 s4, -1, 0
	s_cmp_eq_u32 s9, 0
	v_mov_b64_e32 v[12:13], 0
	s_cselect_b32 s5, -1, 0
	s_delay_alu instid0(SALU_CYCLE_1)
	v_dual_lshlrev_b32 v29, 6, v24 :: v_dual_cndmask_b32 v34, v25, v26, s5
	v_mov_b64_e32 v[20:21], 0
	v_lshl_add_u32 v32, v24, 4, v31
	s_wait_kmcnt 0x0
	v_mul_u64_e32 v[10:11], s[14:15], v[18:19]
	v_mul_u64_e32 v[22:23], s[14:15], v[0:1]
	v_lshl_add_u32 v30, v28, 4, v29
	v_add_nc_u32_e32 v35, 0x400, v29
	s_mul_i32 s5, s7, s7
	s_delay_alu instid0(VALU_DEP_2)
	v_add_nc_u32_e32 v33, 0x400, v30
	s_branch .LBB37_11
.LBB37_9:                               ;   in Loop: Header=BB37_11 Depth=1
	s_or_b32 exec_lo, exec_lo, s9
.LBB37_10:                              ;   in Loop: Header=BB37_11 Depth=1
	s_delay_alu instid0(SALU_CYCLE_1) | instskip(SKIP_1) | instid1(SALU_CYCLE_1)
	s_or_b32 exec_lo, exec_lo, s8
	s_add_co_i32 s22, s22, 1
	s_cmp_ge_i32 s22, s25
	s_barrier_signal -1
	s_barrier_wait -1
	s_cbranch_scc1 .LBB37_25
.LBB37_11:                              ; =>This Loop Header: Depth=1
                                        ;     Child Loop BB37_21 Depth 2
                                        ;     Child Loop BB37_24 Depth 2
	s_and_saveexec_b32 s8, vcc_lo
	s_cbranch_execz .LBB37_16
; %bb.12:                               ;   in Loop: Header=BB37_11 Depth=1
	s_ashr_i32 s23, s22, 31
	s_delay_alu instid0(SALU_CYCLE_1) | instskip(NEXT) | instid1(SALU_CYCLE_1)
	s_lshl_b64 s[26:27], s[22:23], 2
	s_add_nc_u64 s[26:27], s[16:17], s[26:27]
	s_load_b32 s9, s[26:27], 0x0
	s_wait_kmcnt 0x0
	s_sub_co_i32 s9, s9, s21
	s_delay_alu instid0(SALU_CYCLE_1) | instskip(NEXT) | instid1(VALU_DEP_1)
	v_mad_u32 v26, s9, s7, v28
	v_ashrrev_i32_e32 v27, 31, v26
	s_delay_alu instid0(VALU_DEP_1) | instskip(SKIP_1) | instid1(VALU_DEP_2)
	v_mul_u64_e32 v[24:25], s[14:15], v[26:27]
	v_lshl_add_u64 v[26:27], v[26:27], 4, s[12:13]
	v_lshl_add_u64 v[24:25], v[24:25], 4, s[12:13]
	s_and_saveexec_b32 s9, s2
	s_cbranch_execz .LBB37_14
; %bb.13:                               ;   in Loop: Header=BB37_11 Depth=1
	s_delay_alu instid0(VALU_DEP_2) | instskip(NEXT) | instid1(VALU_DEP_2)
	v_lshl_add_u64 v[36:37], v[10:11], 4, v[26:27]
	v_lshl_add_u64 v[38:39], v[18:19], 4, v[24:25]
	s_delay_alu instid0(VALU_DEP_1)
	v_dual_cndmask_b32 v37, v39, v37, s4 :: v_dual_cndmask_b32 v36, v38, v36, s4
	global_load_b128 v[36:39], v[36:37], off
	s_wait_loadcnt 0x0
	ds_store_2addr_b64 v30, v[36:37], v[38:39] offset1:1
.LBB37_14:                              ;   in Loop: Header=BB37_11 Depth=1
	s_or_b32 exec_lo, exec_lo, s9
	s_delay_alu instid0(SALU_CYCLE_1)
	s_and_b32 exec_lo, exec_lo, s3
	s_cbranch_execz .LBB37_16
; %bb.15:                               ;   in Loop: Header=BB37_11 Depth=1
	v_lshl_add_u64 v[26:27], v[22:23], 4, v[26:27]
	v_lshl_add_u64 v[24:25], v[0:1], 4, v[24:25]
	s_delay_alu instid0(VALU_DEP_1)
	v_dual_cndmask_b32 v25, v25, v27, s4 :: v_dual_cndmask_b32 v24, v24, v26, s4
	global_load_b128 v[24:27], v[24:25], off
	s_wait_loadcnt 0x0
	ds_store_2addr_b64 v33, v[24:25], v[26:27] offset1:1
.LBB37_16:                              ;   in Loop: Header=BB37_11 Depth=1
	s_or_b32 exec_lo, exec_lo, s8
	s_and_saveexec_b32 s8, s10
	s_cbranch_execz .LBB37_18
; %bb.17:                               ;   in Loop: Header=BB37_11 Depth=1
	v_mad_u32 v24, s5, s22, v34
	global_load_b128 v[24:27], v24, s[18:19] scale_offset
	s_wait_loadcnt 0x0
	ds_store_2addr_b64 v32, v[24:25], v[26:27] offset1:1
.LBB37_18:                              ;   in Loop: Header=BB37_11 Depth=1
	s_or_b32 exec_lo, exec_lo, s8
	s_wait_loadcnt_dscnt 0x0
	s_barrier_signal -1
	s_barrier_wait -1
	s_and_saveexec_b32 s8, vcc_lo
	s_cbranch_execz .LBB37_10
; %bb.19:                               ;   in Loop: Header=BB37_11 Depth=1
	s_and_saveexec_b32 s9, s2
	s_cbranch_execz .LBB37_22
; %bb.20:                               ;   in Loop: Header=BB37_11 Depth=1
	v_dual_mov_b32 v24, v31 :: v_dual_mov_b32 v25, v29
	s_mov_b32 s23, s7
.LBB37_21:                              ;   Parent Loop BB37_11 Depth=1
                                        ; =>  This Inner Loop Header: Depth=2
	ds_load_b128 v[36:39], v24
	ds_load_b128 v[40:43], v25
	v_add_nc_u32_e32 v24, 16, v24
	s_add_co_i32 s23, s23, -1
	v_add_nc_u32_e32 v25, 16, v25
	s_cmp_lg_u32 s23, 0
	s_wait_dscnt 0x0
	v_fmac_f64_e32 v[20:21], v[36:37], v[40:41]
	v_fmac_f64_e32 v[12:13], v[38:39], v[40:41]
	s_delay_alu instid0(VALU_DEP_2) | instskip(NEXT) | instid1(VALU_DEP_2)
	v_fma_f64 v[20:21], -v[38:39], v[42:43], v[20:21]
	v_fmac_f64_e32 v[12:13], v[36:37], v[42:43]
	s_cbranch_scc1 .LBB37_21
.LBB37_22:                              ;   in Loop: Header=BB37_11 Depth=1
	s_or_b32 exec_lo, exec_lo, s9
	s_and_saveexec_b32 s9, s3
	s_cbranch_execz .LBB37_9
; %bb.23:                               ;   in Loop: Header=BB37_11 Depth=1
	v_dual_mov_b32 v24, v31 :: v_dual_mov_b32 v25, v35
	s_mov_b32 s23, s7
.LBB37_24:                              ;   Parent Loop BB37_11 Depth=1
                                        ; =>  This Inner Loop Header: Depth=2
	ds_load_b128 v[36:39], v24
	ds_load_b128 v[40:43], v25
	v_add_nc_u32_e32 v24, 16, v24
	s_add_co_i32 s23, s23, -1
	v_add_nc_u32_e32 v25, 16, v25
	s_cmp_lg_u32 s23, 0
	s_wait_dscnt 0x0
	v_fmac_f64_e32 v[14:15], v[36:37], v[40:41]
	v_fmac_f64_e32 v[16:17], v[38:39], v[40:41]
	s_delay_alu instid0(VALU_DEP_2) | instskip(NEXT) | instid1(VALU_DEP_2)
	v_fma_f64 v[14:15], -v[38:39], v[42:43], v[14:15]
	v_fmac_f64_e32 v[16:17], v[36:37], v[42:43]
	s_cbranch_scc1 .LBB37_24
	s_branch .LBB37_9
.LBB37_25:
	s_load_b64 s[4:5], s[0:1], 0x78
	s_and_b32 s2, s24, vcc_lo
	s_delay_alu instid0(SALU_CYCLE_1)
	s_and_b32 exec_lo, exec_lo, s2
	s_cbranch_execz .LBB37_48
; %bb.26:
	s_load_b64 s[2:3], s[0:1], 0x80
	v_mad_u32 v10, s7, s6, v28
	s_wait_loadcnt_dscnt 0x0
	v_cmp_neq_f64_e32 vcc_lo, 0, v[6:7]
	s_wait_xcnt 0x0
	v_cmp_neq_f64_e64 s0, 0, v[8:9]
	s_delay_alu instid0(VALU_DEP_3) | instskip(SKIP_1) | instid1(VALU_DEP_1)
	v_ashrrev_i32_e32 v11, 31, v10
	s_wait_kmcnt 0x0
	v_lshl_add_u64 v[22:23], v[10:11], 4, s[4:5]
	v_mul_u64_e32 v[24:25], s[2:3], v[10:11]
	s_or_b32 s0, vcc_lo, s0
	s_cmp_lg_u32 s20, 1
	s_cselect_b32 s1, -1, 0
	s_delay_alu instid0(VALU_DEP_1)
	v_lshl_add_u64 v[24:25], v[24:25], 4, s[4:5]
	s_mov_b32 s4, exec_lo
	v_cmpx_gt_i32_e64 s11, v18
	s_cbranch_execz .LBB37_37
; %bb.27:
	v_ashrrev_i32_e32 v19, 31, v18
	s_and_saveexec_b32 s5, s0
	s_delay_alu instid0(SALU_CYCLE_1)
	s_xor_b32 s5, exec_lo, s5
	s_cbranch_execz .LBB37_32
; %bb.28:
	s_and_b32 vcc_lo, exec_lo, s1
	s_mov_b32 s6, -1
	s_cbranch_vccz .LBB37_30
; %bb.29:
	v_lshl_add_u64 v[10:11], v[18:19], 4, v[24:25]
	v_mul_f64_e64 v[30:31], v[12:13], -v[4:5]
	v_mul_f64_e32 v[32:33], v[2:3], v[12:13]
	s_mov_b32 s6, 0
	global_load_b128 v[26:29], v[10:11], off
	v_fmac_f64_e32 v[30:31], v[2:3], v[20:21]
	v_fmac_f64_e32 v[32:33], v[4:5], v[20:21]
	s_wait_loadcnt 0x0
	s_delay_alu instid0(VALU_DEP_2) | instskip(NEXT) | instid1(VALU_DEP_2)
	v_fmac_f64_e32 v[30:31], v[6:7], v[26:27]
	v_fmac_f64_e32 v[32:33], v[8:9], v[26:27]
	s_delay_alu instid0(VALU_DEP_2) | instskip(NEXT) | instid1(VALU_DEP_2)
	v_fma_f64 v[30:31], -v[8:9], v[28:29], v[30:31]
	v_fmac_f64_e32 v[32:33], v[6:7], v[28:29]
	global_store_b128 v[10:11], v[30:33], off
.LBB37_30:
	s_and_not1_b32 vcc_lo, exec_lo, s6
	s_cbranch_vccnz .LBB37_32
; %bb.31:
	s_wait_xcnt 0x0
	v_mul_u64_e32 v[10:11], s[2:3], v[18:19]
	s_delay_alu instid0(VALU_DEP_1)
	v_lshl_add_u64 v[18:19], v[10:11], 4, v[22:23]
	v_mul_f64_e64 v[10:11], v[12:13], -v[4:5]
	v_mul_f64_e32 v[12:13], v[2:3], v[12:13]
	global_load_b128 v[26:29], v[18:19], off
	v_fmac_f64_e32 v[10:11], v[2:3], v[20:21]
	v_fmac_f64_e32 v[12:13], v[4:5], v[20:21]
                                        ; implicit-def: $vgpr20_vgpr21
	s_wait_loadcnt 0x0
	s_delay_alu instid0(VALU_DEP_2) | instskip(NEXT) | instid1(VALU_DEP_2)
	v_fmac_f64_e32 v[10:11], v[6:7], v[26:27]
	v_fmac_f64_e32 v[12:13], v[8:9], v[26:27]
	s_delay_alu instid0(VALU_DEP_2) | instskip(NEXT) | instid1(VALU_DEP_2)
	v_fma_f64 v[10:11], -v[8:9], v[28:29], v[10:11]
	v_fmac_f64_e32 v[12:13], v[6:7], v[28:29]
	global_store_b128 v[18:19], v[10:13], off
                                        ; implicit-def: $vgpr12_vgpr13
                                        ; implicit-def: $vgpr18
.LBB37_32:
	s_wait_xcnt 0x0
	s_and_not1_saveexec_b32 s5, s5
	s_cbranch_execz .LBB37_37
; %bb.33:
	v_mul_f64_e64 v[10:11], v[12:13], -v[4:5]
	v_mul_f64_e32 v[12:13], v[2:3], v[12:13]
	s_and_b32 vcc_lo, exec_lo, s1
	s_mov_b32 s5, -1
	s_delay_alu instid0(VALU_DEP_2) | instskip(NEXT) | instid1(VALU_DEP_2)
	v_fmac_f64_e32 v[10:11], v[2:3], v[20:21]
	v_fmac_f64_e32 v[12:13], v[4:5], v[20:21]
	s_cbranch_vccz .LBB37_35
; %bb.34:
	v_lshl_add_u64 v[20:21], v[18:19], 4, v[24:25]
	s_mov_b32 s5, 0
	global_store_b128 v[20:21], v[10:13], off
.LBB37_35:
	s_and_not1_b32 vcc_lo, exec_lo, s5
	s_cbranch_vccnz .LBB37_37
; %bb.36:
	v_mul_u64_e32 v[18:19], s[2:3], v[18:19]
	s_delay_alu instid0(VALU_DEP_1)
	v_lshl_add_u64 v[18:19], v[18:19], 4, v[22:23]
	global_store_b128 v[18:19], v[10:13], off
.LBB37_37:
	s_wait_xcnt 0x0
	s_or_b32 exec_lo, exec_lo, s4
	v_cmp_gt_i32_e32 vcc_lo, s11, v0
	s_and_b32 exec_lo, exec_lo, vcc_lo
	s_cbranch_execz .LBB37_48
; %bb.38:
	v_ashrrev_i32_e32 v1, 31, v0
	v_cndmask_b32_e64 v10, 0, 1, s1
	s_and_saveexec_b32 s1, s0
	s_delay_alu instid0(SALU_CYCLE_1)
	s_xor_b32 s0, exec_lo, s1
	s_cbranch_execz .LBB37_43
; %bb.39:
	s_delay_alu instid0(VALU_DEP_1)
	v_cmp_ne_u32_e32 vcc_lo, 1, v10
	s_mov_b32 s1, -1
	s_cbranch_vccnz .LBB37_41
; %bb.40:
	v_lshl_add_u64 v[24:25], v[0:1], 4, v[24:25]
	v_mul_f64_e64 v[18:19], v[16:17], -v[4:5]
	v_mul_f64_e32 v[20:21], v[2:3], v[16:17]
	s_mov_b32 s1, 0
	global_load_b128 v[10:13], v[24:25], off
	v_fmac_f64_e32 v[18:19], v[2:3], v[14:15]
	v_fmac_f64_e32 v[20:21], v[4:5], v[14:15]
	s_wait_loadcnt 0x0
	s_delay_alu instid0(VALU_DEP_2) | instskip(NEXT) | instid1(VALU_DEP_2)
	v_fmac_f64_e32 v[18:19], v[6:7], v[10:11]
	v_fmac_f64_e32 v[20:21], v[8:9], v[10:11]
	s_delay_alu instid0(VALU_DEP_2) | instskip(NEXT) | instid1(VALU_DEP_2)
	v_fma_f64 v[18:19], -v[8:9], v[12:13], v[18:19]
	v_fmac_f64_e32 v[20:21], v[6:7], v[12:13]
	global_store_b128 v[24:25], v[18:21], off
.LBB37_41:
	s_and_not1_b32 vcc_lo, exec_lo, s1
                                        ; implicit-def: $vgpr24_vgpr25
                                        ; implicit-def: $vgpr10
	s_cbranch_vccnz .LBB37_43
; %bb.42:
	v_mul_u64_e32 v[0:1], s[2:3], v[0:1]
	s_wait_xcnt 0x0
	v_mul_f64_e64 v[18:19], v[16:17], -v[4:5]
	v_mul_f64_e32 v[16:17], v[2:3], v[16:17]
                                        ; implicit-def: $vgpr24_vgpr25
	s_delay_alu instid0(VALU_DEP_3) | instskip(NEXT) | instid1(VALU_DEP_3)
	v_lshl_add_u64 v[0:1], v[0:1], 4, v[22:23]
	v_fmac_f64_e32 v[18:19], v[2:3], v[14:15]
	s_delay_alu instid0(VALU_DEP_3) | instskip(SKIP_4) | instid1(VALU_DEP_2)
	v_fmac_f64_e32 v[16:17], v[4:5], v[14:15]
                                        ; implicit-def: $vgpr22_vgpr23
                                        ; implicit-def: $vgpr4_vgpr5
	global_load_b128 v[10:13], v[0:1], off
	s_wait_loadcnt 0x0
	v_fmac_f64_e32 v[18:19], v[6:7], v[10:11]
	v_fmac_f64_e32 v[16:17], v[8:9], v[10:11]
                                        ; implicit-def: $vgpr10
	v_fma_f64 v[14:15], -v[8:9], v[12:13], v[18:19]
	s_delay_alu instid0(VALU_DEP_2)
	v_fmac_f64_e32 v[16:17], v[6:7], v[12:13]
	global_store_b128 v[0:1], v[14:17], off
                                        ; implicit-def: $vgpr0
                                        ; implicit-def: $vgpr14_vgpr15
                                        ; implicit-def: $vgpr16_vgpr17
.LBB37_43:
	s_wait_xcnt 0x0
	s_and_not1_saveexec_b32 s0, s0
	s_cbranch_execz .LBB37_48
; %bb.44:
	v_mul_f64_e64 v[6:7], v[16:17], -v[4:5]
	v_mul_f64_e32 v[8:9], v[2:3], v[16:17]
	v_cmp_ne_u32_e32 vcc_lo, 1, v10
	s_mov_b32 s0, -1
	s_delay_alu instid0(VALU_DEP_3) | instskip(NEXT) | instid1(VALU_DEP_3)
	v_fmac_f64_e32 v[6:7], v[2:3], v[14:15]
	v_fmac_f64_e32 v[8:9], v[4:5], v[14:15]
	s_cbranch_vccnz .LBB37_46
; %bb.45:
	v_lshl_add_u64 v[2:3], v[0:1], 4, v[24:25]
	s_mov_b32 s0, 0
	global_store_b128 v[2:3], v[6:9], off
.LBB37_46:
	s_and_not1_b32 vcc_lo, exec_lo, s0
	s_cbranch_vccnz .LBB37_48
; %bb.47:
	v_mul_u64_e32 v[0:1], s[2:3], v[0:1]
	s_delay_alu instid0(VALU_DEP_1)
	v_lshl_add_u64 v[0:1], v[0:1], 4, v[22:23]
	global_store_b128 v[0:1], v[6:9], off
.LBB37_48:
	s_endpgm
	.section	.rodata,"a",@progbits
	.p2align	6, 0x0
	.amdhsa_kernel _ZN9rocsparseL31bsrmm_large_blockdim_kernel_extILj4ELj16ELj2Eii21rocsparse_complex_numIdES2_S2_S2_EEvb20rocsparse_direction_T3_S4_llNS_24const_host_device_scalarIT7_EEPKT2_PKS4_PKT4_S4_PKT5_llS7_PT6_ll16rocsparse_order_21rocsparse_index_base_b
		.amdhsa_group_segment_fixed_size 2304
		.amdhsa_private_segment_fixed_size 0
		.amdhsa_kernarg_size 156
		.amdhsa_user_sgpr_count 2
		.amdhsa_user_sgpr_dispatch_ptr 0
		.amdhsa_user_sgpr_queue_ptr 0
		.amdhsa_user_sgpr_kernarg_segment_ptr 1
		.amdhsa_user_sgpr_dispatch_id 0
		.amdhsa_user_sgpr_kernarg_preload_length 0
		.amdhsa_user_sgpr_kernarg_preload_offset 0
		.amdhsa_user_sgpr_private_segment_size 0
		.amdhsa_wavefront_size32 1
		.amdhsa_uses_dynamic_stack 0
		.amdhsa_enable_private_segment 0
		.amdhsa_system_sgpr_workgroup_id_x 1
		.amdhsa_system_sgpr_workgroup_id_y 1
		.amdhsa_system_sgpr_workgroup_id_z 0
		.amdhsa_system_sgpr_workgroup_info 0
		.amdhsa_system_vgpr_workitem_id 1
		.amdhsa_next_free_vgpr 44
		.amdhsa_next_free_sgpr 28
		.amdhsa_named_barrier_count 0
		.amdhsa_reserve_vcc 1
		.amdhsa_float_round_mode_32 0
		.amdhsa_float_round_mode_16_64 0
		.amdhsa_float_denorm_mode_32 3
		.amdhsa_float_denorm_mode_16_64 3
		.amdhsa_fp16_overflow 0
		.amdhsa_memory_ordered 1
		.amdhsa_forward_progress 1
		.amdhsa_inst_pref_size 16
		.amdhsa_round_robin_scheduling 0
		.amdhsa_exception_fp_ieee_invalid_op 0
		.amdhsa_exception_fp_denorm_src 0
		.amdhsa_exception_fp_ieee_div_zero 0
		.amdhsa_exception_fp_ieee_overflow 0
		.amdhsa_exception_fp_ieee_underflow 0
		.amdhsa_exception_fp_ieee_inexact 0
		.amdhsa_exception_int_div_zero 0
	.end_amdhsa_kernel
	.section	.text._ZN9rocsparseL31bsrmm_large_blockdim_kernel_extILj4ELj16ELj2Eii21rocsparse_complex_numIdES2_S2_S2_EEvb20rocsparse_direction_T3_S4_llNS_24const_host_device_scalarIT7_EEPKT2_PKS4_PKT4_S4_PKT5_llS7_PT6_ll16rocsparse_order_21rocsparse_index_base_b,"axG",@progbits,_ZN9rocsparseL31bsrmm_large_blockdim_kernel_extILj4ELj16ELj2Eii21rocsparse_complex_numIdES2_S2_S2_EEvb20rocsparse_direction_T3_S4_llNS_24const_host_device_scalarIT7_EEPKT2_PKS4_PKT4_S4_PKT5_llS7_PT6_ll16rocsparse_order_21rocsparse_index_base_b,comdat
.Lfunc_end37:
	.size	_ZN9rocsparseL31bsrmm_large_blockdim_kernel_extILj4ELj16ELj2Eii21rocsparse_complex_numIdES2_S2_S2_EEvb20rocsparse_direction_T3_S4_llNS_24const_host_device_scalarIT7_EEPKT2_PKS4_PKT4_S4_PKT5_llS7_PT6_ll16rocsparse_order_21rocsparse_index_base_b, .Lfunc_end37-_ZN9rocsparseL31bsrmm_large_blockdim_kernel_extILj4ELj16ELj2Eii21rocsparse_complex_numIdES2_S2_S2_EEvb20rocsparse_direction_T3_S4_llNS_24const_host_device_scalarIT7_EEPKT2_PKS4_PKT4_S4_PKT5_llS7_PT6_ll16rocsparse_order_21rocsparse_index_base_b
                                        ; -- End function
	.set _ZN9rocsparseL31bsrmm_large_blockdim_kernel_extILj4ELj16ELj2Eii21rocsparse_complex_numIdES2_S2_S2_EEvb20rocsparse_direction_T3_S4_llNS_24const_host_device_scalarIT7_EEPKT2_PKS4_PKT4_S4_PKT5_llS7_PT6_ll16rocsparse_order_21rocsparse_index_base_b.num_vgpr, 44
	.set _ZN9rocsparseL31bsrmm_large_blockdim_kernel_extILj4ELj16ELj2Eii21rocsparse_complex_numIdES2_S2_S2_EEvb20rocsparse_direction_T3_S4_llNS_24const_host_device_scalarIT7_EEPKT2_PKS4_PKT4_S4_PKT5_llS7_PT6_ll16rocsparse_order_21rocsparse_index_base_b.num_agpr, 0
	.set _ZN9rocsparseL31bsrmm_large_blockdim_kernel_extILj4ELj16ELj2Eii21rocsparse_complex_numIdES2_S2_S2_EEvb20rocsparse_direction_T3_S4_llNS_24const_host_device_scalarIT7_EEPKT2_PKS4_PKT4_S4_PKT5_llS7_PT6_ll16rocsparse_order_21rocsparse_index_base_b.numbered_sgpr, 28
	.set _ZN9rocsparseL31bsrmm_large_blockdim_kernel_extILj4ELj16ELj2Eii21rocsparse_complex_numIdES2_S2_S2_EEvb20rocsparse_direction_T3_S4_llNS_24const_host_device_scalarIT7_EEPKT2_PKS4_PKT4_S4_PKT5_llS7_PT6_ll16rocsparse_order_21rocsparse_index_base_b.num_named_barrier, 0
	.set _ZN9rocsparseL31bsrmm_large_blockdim_kernel_extILj4ELj16ELj2Eii21rocsparse_complex_numIdES2_S2_S2_EEvb20rocsparse_direction_T3_S4_llNS_24const_host_device_scalarIT7_EEPKT2_PKS4_PKT4_S4_PKT5_llS7_PT6_ll16rocsparse_order_21rocsparse_index_base_b.private_seg_size, 0
	.set _ZN9rocsparseL31bsrmm_large_blockdim_kernel_extILj4ELj16ELj2Eii21rocsparse_complex_numIdES2_S2_S2_EEvb20rocsparse_direction_T3_S4_llNS_24const_host_device_scalarIT7_EEPKT2_PKS4_PKT4_S4_PKT5_llS7_PT6_ll16rocsparse_order_21rocsparse_index_base_b.uses_vcc, 1
	.set _ZN9rocsparseL31bsrmm_large_blockdim_kernel_extILj4ELj16ELj2Eii21rocsparse_complex_numIdES2_S2_S2_EEvb20rocsparse_direction_T3_S4_llNS_24const_host_device_scalarIT7_EEPKT2_PKS4_PKT4_S4_PKT5_llS7_PT6_ll16rocsparse_order_21rocsparse_index_base_b.uses_flat_scratch, 0
	.set _ZN9rocsparseL31bsrmm_large_blockdim_kernel_extILj4ELj16ELj2Eii21rocsparse_complex_numIdES2_S2_S2_EEvb20rocsparse_direction_T3_S4_llNS_24const_host_device_scalarIT7_EEPKT2_PKS4_PKT4_S4_PKT5_llS7_PT6_ll16rocsparse_order_21rocsparse_index_base_b.has_dyn_sized_stack, 0
	.set _ZN9rocsparseL31bsrmm_large_blockdim_kernel_extILj4ELj16ELj2Eii21rocsparse_complex_numIdES2_S2_S2_EEvb20rocsparse_direction_T3_S4_llNS_24const_host_device_scalarIT7_EEPKT2_PKS4_PKT4_S4_PKT5_llS7_PT6_ll16rocsparse_order_21rocsparse_index_base_b.has_recursion, 0
	.set _ZN9rocsparseL31bsrmm_large_blockdim_kernel_extILj4ELj16ELj2Eii21rocsparse_complex_numIdES2_S2_S2_EEvb20rocsparse_direction_T3_S4_llNS_24const_host_device_scalarIT7_EEPKT2_PKS4_PKT4_S4_PKT5_llS7_PT6_ll16rocsparse_order_21rocsparse_index_base_b.has_indirect_call, 0
	.section	.AMDGPU.csdata,"",@progbits
; Kernel info:
; codeLenInByte = 1952
; TotalNumSgprs: 30
; NumVgprs: 44
; ScratchSize: 0
; MemoryBound: 0
; FloatMode: 240
; IeeeMode: 1
; LDSByteSize: 2304 bytes/workgroup (compile time only)
; SGPRBlocks: 0
; VGPRBlocks: 2
; NumSGPRsForWavesPerEU: 30
; NumVGPRsForWavesPerEU: 44
; NamedBarCnt: 0
; Occupancy: 16
; WaveLimiterHint : 0
; COMPUTE_PGM_RSRC2:SCRATCH_EN: 0
; COMPUTE_PGM_RSRC2:USER_SGPR: 2
; COMPUTE_PGM_RSRC2:TRAP_HANDLER: 0
; COMPUTE_PGM_RSRC2:TGID_X_EN: 1
; COMPUTE_PGM_RSRC2:TGID_Y_EN: 1
; COMPUTE_PGM_RSRC2:TGID_Z_EN: 0
; COMPUTE_PGM_RSRC2:TIDIG_COMP_CNT: 1
	.section	.text._ZN9rocsparseL31bsrmm_large_blockdim_kernel_extILj16ELj16ELj2Eii21rocsparse_complex_numIdES2_S2_S2_EEvb20rocsparse_direction_T3_S4_llNS_24const_host_device_scalarIT7_EEPKT2_PKS4_PKT4_S4_PKT5_llS7_PT6_ll16rocsparse_order_21rocsparse_index_base_b,"axG",@progbits,_ZN9rocsparseL31bsrmm_large_blockdim_kernel_extILj16ELj16ELj2Eii21rocsparse_complex_numIdES2_S2_S2_EEvb20rocsparse_direction_T3_S4_llNS_24const_host_device_scalarIT7_EEPKT2_PKS4_PKT4_S4_PKT5_llS7_PT6_ll16rocsparse_order_21rocsparse_index_base_b,comdat
	.globl	_ZN9rocsparseL31bsrmm_large_blockdim_kernel_extILj16ELj16ELj2Eii21rocsparse_complex_numIdES2_S2_S2_EEvb20rocsparse_direction_T3_S4_llNS_24const_host_device_scalarIT7_EEPKT2_PKS4_PKT4_S4_PKT5_llS7_PT6_ll16rocsparse_order_21rocsparse_index_base_b ; -- Begin function _ZN9rocsparseL31bsrmm_large_blockdim_kernel_extILj16ELj16ELj2Eii21rocsparse_complex_numIdES2_S2_S2_EEvb20rocsparse_direction_T3_S4_llNS_24const_host_device_scalarIT7_EEPKT2_PKS4_PKT4_S4_PKT5_llS7_PT6_ll16rocsparse_order_21rocsparse_index_base_b
	.p2align	8
	.type	_ZN9rocsparseL31bsrmm_large_blockdim_kernel_extILj16ELj16ELj2Eii21rocsparse_complex_numIdES2_S2_S2_EEvb20rocsparse_direction_T3_S4_llNS_24const_host_device_scalarIT7_EEPKT2_PKS4_PKT4_S4_PKT5_llS7_PT6_ll16rocsparse_order_21rocsparse_index_base_b,@function
_ZN9rocsparseL31bsrmm_large_blockdim_kernel_extILj16ELj16ELj2Eii21rocsparse_complex_numIdES2_S2_S2_EEvb20rocsparse_direction_T3_S4_llNS_24const_host_device_scalarIT7_EEPKT2_PKS4_PKT4_S4_PKT5_llS7_PT6_ll16rocsparse_order_21rocsparse_index_base_b: ; @_ZN9rocsparseL31bsrmm_large_blockdim_kernel_extILj16ELj16ELj2Eii21rocsparse_complex_numIdES2_S2_S2_EEvb20rocsparse_direction_T3_S4_llNS_24const_host_device_scalarIT7_EEPKT2_PKS4_PKT4_S4_PKT5_llS7_PT6_ll16rocsparse_order_21rocsparse_index_base_b
; %bb.0:
	s_clause 0x1
	s_load_b96 s[20:22], s[0:1], 0x90
	s_load_b64 s[2:3], s[0:1], 0x20
	v_mov_b32_e32 v1, 0
	s_add_nc_u64 s[4:5], s[0:1], 32
	s_load_b64 s[6:7], s[0:1], 0x68
	s_wait_kmcnt 0x0
	s_bitcmp1_b32 s22, 0
	s_cselect_b32 s3, s5, s3
	s_cselect_b32 s2, s4, s2
	flat_load_b128 v[2:5], v1, s[2:3]
	s_wait_xcnt 0x0
	s_add_nc_u64 s[2:3], s[0:1], 0x68
	s_delay_alu instid0(SALU_CYCLE_1)
	s_cselect_b32 s3, s3, s7
	s_cselect_b32 s2, s2, s6
	flat_load_b128 v[6:9], v1, s[2:3]
	s_wait_loadcnt_dscnt 0x101
	v_cmp_eq_f64_e32 vcc_lo, 0, v[2:3]
	s_wait_xcnt 0x0
	v_cmp_eq_f64_e64 s2, 0, v[4:5]
	s_and_b32 s4, vcc_lo, s2
	s_mov_b32 s2, -1
	s_and_saveexec_b32 s3, s4
	s_cbranch_execz .LBB38_2
; %bb.1:
	s_wait_loadcnt_dscnt 0x0
	v_cmp_neq_f64_e32 vcc_lo, 1.0, v[6:7]
	v_cmp_neq_f64_e64 s2, 0, v[8:9]
	s_or_b32 s2, vcc_lo, s2
	s_delay_alu instid0(SALU_CYCLE_1)
	s_or_not1_b32 s2, s2, exec_lo
.LBB38_2:
	s_or_b32 exec_lo, exec_lo, s3
	s_and_saveexec_b32 s3, s2
	s_cbranch_execz .LBB38_48
; %bb.3:
	s_clause 0x1
	s_load_b128 s[8:11], s[0:1], 0x0
	s_load_b64 s[2:3], s[0:1], 0x30
	s_bfe_u32 s4, ttmp6, 0x4000c
	s_and_b32 s5, ttmp6, 15
	s_add_co_i32 s4, s4, 1
	s_mov_b32 s25, 0
	s_mul_i32 s6, ttmp9, s4
	s_getreg_b32 s4, hwreg(HW_REG_IB_STS2, 6, 4)
	s_add_co_i32 s5, s5, s6
	s_cmp_eq_u32 s4, 0
	s_mov_b32 s22, 0
	s_cselect_b32 s6, ttmp9, s5
	s_wait_kmcnt 0x0
	s_cmp_lt_i32 s6, s10
	s_cselect_b32 s24, -1, 0
	s_cmp_ge_i32 s6, s10
	s_cbranch_scc1 .LBB38_5
; %bb.4:
	s_ashr_i32 s7, s6, 31
	s_delay_alu instid0(SALU_CYCLE_1) | instskip(NEXT) | instid1(SALU_CYCLE_1)
	s_lshl_b64 s[12:13], s[6:7], 2
	s_add_nc_u64 s[12:13], s[2:3], s[12:13]
	s_load_b32 s5, s[12:13], 0x0
	s_wait_kmcnt 0x0
	s_sub_co_i32 s22, s5, s21
.LBB38_5:
	s_and_not1_b32 vcc_lo, exec_lo, s24
	s_cbranch_vccnz .LBB38_7
; %bb.6:
	s_ashr_i32 s7, s6, 31
	s_delay_alu instid0(SALU_CYCLE_1) | instskip(NEXT) | instid1(SALU_CYCLE_1)
	s_lshl_b64 s[12:13], s[6:7], 2
	s_add_nc_u64 s[2:3], s[2:3], s[12:13]
	s_load_b32 s2, s[2:3], 0x4
	s_wait_kmcnt 0x0
	s_sub_co_i32 s25, s2, s21
.LBB38_7:
	s_bfe_u32 s2, ttmp6, 0x40010
	s_bfe_u32 s3, ttmp6, 0x40004
	s_add_co_i32 s2, s2, 1
	s_load_b32 s7, s[0:1], 0x48
	s_mul_i32 s2, ttmp7, s2
	v_bfe_u32 v24, v0, 10, 10
	s_add_co_i32 s3, s3, s2
	s_cmp_eq_u32 s4, 0
	v_and_b32_e32 v28, 0x3ff, v0
	s_cselect_b32 s2, ttmp7, s3
	v_mov_b64_e32 v[20:21], 0
	v_lshl_add_u32 v18, s2, 5, v24
	v_mov_b64_e32 v[12:13], 0
	v_mov_b64_e32 v[14:15], 0
	;; [unrolled: 1-line block ×3, first 2 shown]
	s_cmp_ge_i32 s22, s25
	v_add_nc_u32_e32 v0, 16, v18
	v_cmp_gt_i32_e64 s2, s11, v18
	s_delay_alu instid0(VALU_DEP_2)
	v_cmp_gt_i32_e64 s3, s11, v0
	s_wait_kmcnt 0x0
	v_cmp_gt_i32_e32 vcc_lo, s7, v28
	s_cbranch_scc1 .LBB38_25
; %bb.8:
	s_clause 0x1
	s_load_b128 s[12:15], s[0:1], 0x50
	s_load_b128 s[16:19], s[0:1], 0x38
	v_dual_ashrrev_i32 v19, 31, v18 :: v_dual_ashrrev_i32 v1, 31, v0
	v_cmp_gt_i32_e64 s4, s7, v24
	v_mad_u32 v25, s7, v24, v28
	v_mad_u32 v26, s7, v28, v24
	v_lshl_add_u32 v31, v28, 8, 0x2000
	v_mov_b64_e32 v[16:17], 0
	s_and_b32 s10, vcc_lo, s4
	s_bitcmp1_b32 s8, 0
	v_mov_b64_e32 v[14:15], 0
	s_cselect_b32 s4, -1, 0
	s_cmp_eq_u32 s9, 0
	v_mov_b64_e32 v[12:13], 0
	s_cselect_b32 s5, -1, 0
	s_delay_alu instid0(SALU_CYCLE_1)
	v_dual_lshlrev_b32 v29, 8, v24 :: v_dual_cndmask_b32 v34, v25, v26, s5
	v_mov_b64_e32 v[20:21], 0
	v_lshl_add_u32 v32, v24, 4, v31
	s_wait_kmcnt 0x0
	v_mul_u64_e32 v[10:11], s[14:15], v[18:19]
	v_mul_u64_e32 v[22:23], s[14:15], v[0:1]
	v_lshl_add_u32 v30, v28, 4, v29
	v_add_nc_u32_e32 v35, 0x1000, v29
	s_mul_i32 s5, s7, s7
	s_delay_alu instid0(VALU_DEP_2)
	v_add_nc_u32_e32 v33, 0x1000, v30
	s_branch .LBB38_11
.LBB38_9:                               ;   in Loop: Header=BB38_11 Depth=1
	s_or_b32 exec_lo, exec_lo, s9
.LBB38_10:                              ;   in Loop: Header=BB38_11 Depth=1
	s_delay_alu instid0(SALU_CYCLE_1) | instskip(SKIP_1) | instid1(SALU_CYCLE_1)
	s_or_b32 exec_lo, exec_lo, s8
	s_add_co_i32 s22, s22, 1
	s_cmp_ge_i32 s22, s25
	s_barrier_signal -1
	s_barrier_wait -1
	s_cbranch_scc1 .LBB38_25
.LBB38_11:                              ; =>This Loop Header: Depth=1
                                        ;     Child Loop BB38_21 Depth 2
                                        ;     Child Loop BB38_24 Depth 2
	s_and_saveexec_b32 s8, vcc_lo
	s_cbranch_execz .LBB38_16
; %bb.12:                               ;   in Loop: Header=BB38_11 Depth=1
	s_ashr_i32 s23, s22, 31
	s_delay_alu instid0(SALU_CYCLE_1) | instskip(NEXT) | instid1(SALU_CYCLE_1)
	s_lshl_b64 s[26:27], s[22:23], 2
	s_add_nc_u64 s[26:27], s[16:17], s[26:27]
	s_load_b32 s9, s[26:27], 0x0
	s_wait_kmcnt 0x0
	s_sub_co_i32 s9, s9, s21
	s_delay_alu instid0(SALU_CYCLE_1) | instskip(NEXT) | instid1(VALU_DEP_1)
	v_mad_u32 v26, s9, s7, v28
	v_ashrrev_i32_e32 v27, 31, v26
	s_delay_alu instid0(VALU_DEP_1) | instskip(SKIP_1) | instid1(VALU_DEP_2)
	v_mul_u64_e32 v[24:25], s[14:15], v[26:27]
	v_lshl_add_u64 v[26:27], v[26:27], 4, s[12:13]
	v_lshl_add_u64 v[24:25], v[24:25], 4, s[12:13]
	s_and_saveexec_b32 s9, s2
	s_cbranch_execz .LBB38_14
; %bb.13:                               ;   in Loop: Header=BB38_11 Depth=1
	s_delay_alu instid0(VALU_DEP_2) | instskip(NEXT) | instid1(VALU_DEP_2)
	v_lshl_add_u64 v[36:37], v[10:11], 4, v[26:27]
	v_lshl_add_u64 v[38:39], v[18:19], 4, v[24:25]
	s_delay_alu instid0(VALU_DEP_1)
	v_dual_cndmask_b32 v37, v39, v37, s4 :: v_dual_cndmask_b32 v36, v38, v36, s4
	global_load_b128 v[36:39], v[36:37], off
	s_wait_loadcnt 0x0
	ds_store_2addr_b64 v30, v[36:37], v[38:39] offset1:1
.LBB38_14:                              ;   in Loop: Header=BB38_11 Depth=1
	s_or_b32 exec_lo, exec_lo, s9
	s_delay_alu instid0(SALU_CYCLE_1)
	s_and_b32 exec_lo, exec_lo, s3
	s_cbranch_execz .LBB38_16
; %bb.15:                               ;   in Loop: Header=BB38_11 Depth=1
	v_lshl_add_u64 v[26:27], v[22:23], 4, v[26:27]
	v_lshl_add_u64 v[24:25], v[0:1], 4, v[24:25]
	s_delay_alu instid0(VALU_DEP_1)
	v_dual_cndmask_b32 v25, v25, v27, s4 :: v_dual_cndmask_b32 v24, v24, v26, s4
	global_load_b128 v[24:27], v[24:25], off
	s_wait_loadcnt 0x0
	ds_store_2addr_b64 v33, v[24:25], v[26:27] offset1:1
.LBB38_16:                              ;   in Loop: Header=BB38_11 Depth=1
	s_or_b32 exec_lo, exec_lo, s8
	s_and_saveexec_b32 s8, s10
	s_cbranch_execz .LBB38_18
; %bb.17:                               ;   in Loop: Header=BB38_11 Depth=1
	v_mad_u32 v24, s5, s22, v34
	global_load_b128 v[24:27], v24, s[18:19] scale_offset
	s_wait_loadcnt 0x0
	ds_store_2addr_b64 v32, v[24:25], v[26:27] offset1:1
.LBB38_18:                              ;   in Loop: Header=BB38_11 Depth=1
	s_or_b32 exec_lo, exec_lo, s8
	s_wait_loadcnt_dscnt 0x0
	s_barrier_signal -1
	s_barrier_wait -1
	s_and_saveexec_b32 s8, vcc_lo
	s_cbranch_execz .LBB38_10
; %bb.19:                               ;   in Loop: Header=BB38_11 Depth=1
	s_and_saveexec_b32 s9, s2
	s_cbranch_execz .LBB38_22
; %bb.20:                               ;   in Loop: Header=BB38_11 Depth=1
	v_dual_mov_b32 v24, v31 :: v_dual_mov_b32 v25, v29
	s_mov_b32 s23, s7
.LBB38_21:                              ;   Parent Loop BB38_11 Depth=1
                                        ; =>  This Inner Loop Header: Depth=2
	ds_load_b128 v[36:39], v24
	ds_load_b128 v[40:43], v25
	v_add_nc_u32_e32 v24, 16, v24
	s_add_co_i32 s23, s23, -1
	v_add_nc_u32_e32 v25, 16, v25
	s_cmp_lg_u32 s23, 0
	s_wait_dscnt 0x0
	v_fmac_f64_e32 v[20:21], v[36:37], v[40:41]
	v_fmac_f64_e32 v[12:13], v[38:39], v[40:41]
	s_delay_alu instid0(VALU_DEP_2) | instskip(NEXT) | instid1(VALU_DEP_2)
	v_fma_f64 v[20:21], -v[38:39], v[42:43], v[20:21]
	v_fmac_f64_e32 v[12:13], v[36:37], v[42:43]
	s_cbranch_scc1 .LBB38_21
.LBB38_22:                              ;   in Loop: Header=BB38_11 Depth=1
	s_or_b32 exec_lo, exec_lo, s9
	s_and_saveexec_b32 s9, s3
	s_cbranch_execz .LBB38_9
; %bb.23:                               ;   in Loop: Header=BB38_11 Depth=1
	v_dual_mov_b32 v24, v31 :: v_dual_mov_b32 v25, v35
	s_mov_b32 s23, s7
.LBB38_24:                              ;   Parent Loop BB38_11 Depth=1
                                        ; =>  This Inner Loop Header: Depth=2
	ds_load_b128 v[36:39], v24
	ds_load_b128 v[40:43], v25
	v_add_nc_u32_e32 v24, 16, v24
	s_add_co_i32 s23, s23, -1
	v_add_nc_u32_e32 v25, 16, v25
	s_cmp_lg_u32 s23, 0
	s_wait_dscnt 0x0
	v_fmac_f64_e32 v[14:15], v[36:37], v[40:41]
	v_fmac_f64_e32 v[16:17], v[38:39], v[40:41]
	s_delay_alu instid0(VALU_DEP_2) | instskip(NEXT) | instid1(VALU_DEP_2)
	v_fma_f64 v[14:15], -v[38:39], v[42:43], v[14:15]
	v_fmac_f64_e32 v[16:17], v[36:37], v[42:43]
	s_cbranch_scc1 .LBB38_24
	s_branch .LBB38_9
.LBB38_25:
	s_load_b64 s[4:5], s[0:1], 0x78
	s_and_b32 s2, s24, vcc_lo
	s_delay_alu instid0(SALU_CYCLE_1)
	s_and_b32 exec_lo, exec_lo, s2
	s_cbranch_execz .LBB38_48
; %bb.26:
	s_load_b64 s[2:3], s[0:1], 0x80
	v_mad_u32 v10, s7, s6, v28
	s_wait_loadcnt_dscnt 0x0
	v_cmp_neq_f64_e32 vcc_lo, 0, v[6:7]
	s_wait_xcnt 0x0
	v_cmp_neq_f64_e64 s0, 0, v[8:9]
	s_delay_alu instid0(VALU_DEP_3) | instskip(SKIP_1) | instid1(VALU_DEP_1)
	v_ashrrev_i32_e32 v11, 31, v10
	s_wait_kmcnt 0x0
	v_lshl_add_u64 v[22:23], v[10:11], 4, s[4:5]
	v_mul_u64_e32 v[24:25], s[2:3], v[10:11]
	s_or_b32 s0, vcc_lo, s0
	s_cmp_lg_u32 s20, 1
	s_cselect_b32 s1, -1, 0
	s_delay_alu instid0(VALU_DEP_1)
	v_lshl_add_u64 v[24:25], v[24:25], 4, s[4:5]
	s_mov_b32 s4, exec_lo
	v_cmpx_gt_i32_e64 s11, v18
	s_cbranch_execz .LBB38_37
; %bb.27:
	v_ashrrev_i32_e32 v19, 31, v18
	s_and_saveexec_b32 s5, s0
	s_delay_alu instid0(SALU_CYCLE_1)
	s_xor_b32 s5, exec_lo, s5
	s_cbranch_execz .LBB38_32
; %bb.28:
	s_and_b32 vcc_lo, exec_lo, s1
	s_mov_b32 s6, -1
	s_cbranch_vccz .LBB38_30
; %bb.29:
	v_lshl_add_u64 v[10:11], v[18:19], 4, v[24:25]
	v_mul_f64_e64 v[30:31], v[12:13], -v[4:5]
	v_mul_f64_e32 v[32:33], v[2:3], v[12:13]
	s_mov_b32 s6, 0
	global_load_b128 v[26:29], v[10:11], off
	v_fmac_f64_e32 v[30:31], v[2:3], v[20:21]
	v_fmac_f64_e32 v[32:33], v[4:5], v[20:21]
	s_wait_loadcnt 0x0
	s_delay_alu instid0(VALU_DEP_2) | instskip(NEXT) | instid1(VALU_DEP_2)
	v_fmac_f64_e32 v[30:31], v[6:7], v[26:27]
	v_fmac_f64_e32 v[32:33], v[8:9], v[26:27]
	s_delay_alu instid0(VALU_DEP_2) | instskip(NEXT) | instid1(VALU_DEP_2)
	v_fma_f64 v[30:31], -v[8:9], v[28:29], v[30:31]
	v_fmac_f64_e32 v[32:33], v[6:7], v[28:29]
	global_store_b128 v[10:11], v[30:33], off
.LBB38_30:
	s_and_not1_b32 vcc_lo, exec_lo, s6
	s_cbranch_vccnz .LBB38_32
; %bb.31:
	s_wait_xcnt 0x0
	v_mul_u64_e32 v[10:11], s[2:3], v[18:19]
	s_delay_alu instid0(VALU_DEP_1)
	v_lshl_add_u64 v[18:19], v[10:11], 4, v[22:23]
	v_mul_f64_e64 v[10:11], v[12:13], -v[4:5]
	v_mul_f64_e32 v[12:13], v[2:3], v[12:13]
	global_load_b128 v[26:29], v[18:19], off
	v_fmac_f64_e32 v[10:11], v[2:3], v[20:21]
	v_fmac_f64_e32 v[12:13], v[4:5], v[20:21]
                                        ; implicit-def: $vgpr20_vgpr21
	s_wait_loadcnt 0x0
	s_delay_alu instid0(VALU_DEP_2) | instskip(NEXT) | instid1(VALU_DEP_2)
	v_fmac_f64_e32 v[10:11], v[6:7], v[26:27]
	v_fmac_f64_e32 v[12:13], v[8:9], v[26:27]
	s_delay_alu instid0(VALU_DEP_2) | instskip(NEXT) | instid1(VALU_DEP_2)
	v_fma_f64 v[10:11], -v[8:9], v[28:29], v[10:11]
	v_fmac_f64_e32 v[12:13], v[6:7], v[28:29]
	global_store_b128 v[18:19], v[10:13], off
                                        ; implicit-def: $vgpr12_vgpr13
                                        ; implicit-def: $vgpr18
.LBB38_32:
	s_wait_xcnt 0x0
	s_and_not1_saveexec_b32 s5, s5
	s_cbranch_execz .LBB38_37
; %bb.33:
	v_mul_f64_e64 v[10:11], v[12:13], -v[4:5]
	v_mul_f64_e32 v[12:13], v[2:3], v[12:13]
	s_and_b32 vcc_lo, exec_lo, s1
	s_mov_b32 s5, -1
	s_delay_alu instid0(VALU_DEP_2) | instskip(NEXT) | instid1(VALU_DEP_2)
	v_fmac_f64_e32 v[10:11], v[2:3], v[20:21]
	v_fmac_f64_e32 v[12:13], v[4:5], v[20:21]
	s_cbranch_vccz .LBB38_35
; %bb.34:
	v_lshl_add_u64 v[20:21], v[18:19], 4, v[24:25]
	s_mov_b32 s5, 0
	global_store_b128 v[20:21], v[10:13], off
.LBB38_35:
	s_and_not1_b32 vcc_lo, exec_lo, s5
	s_cbranch_vccnz .LBB38_37
; %bb.36:
	v_mul_u64_e32 v[18:19], s[2:3], v[18:19]
	s_delay_alu instid0(VALU_DEP_1)
	v_lshl_add_u64 v[18:19], v[18:19], 4, v[22:23]
	global_store_b128 v[18:19], v[10:13], off
.LBB38_37:
	s_wait_xcnt 0x0
	s_or_b32 exec_lo, exec_lo, s4
	v_cmp_gt_i32_e32 vcc_lo, s11, v0
	s_and_b32 exec_lo, exec_lo, vcc_lo
	s_cbranch_execz .LBB38_48
; %bb.38:
	v_ashrrev_i32_e32 v1, 31, v0
	v_cndmask_b32_e64 v10, 0, 1, s1
	s_and_saveexec_b32 s1, s0
	s_delay_alu instid0(SALU_CYCLE_1)
	s_xor_b32 s0, exec_lo, s1
	s_cbranch_execz .LBB38_43
; %bb.39:
	s_delay_alu instid0(VALU_DEP_1)
	v_cmp_ne_u32_e32 vcc_lo, 1, v10
	s_mov_b32 s1, -1
	s_cbranch_vccnz .LBB38_41
; %bb.40:
	v_lshl_add_u64 v[24:25], v[0:1], 4, v[24:25]
	v_mul_f64_e64 v[18:19], v[16:17], -v[4:5]
	v_mul_f64_e32 v[20:21], v[2:3], v[16:17]
	s_mov_b32 s1, 0
	global_load_b128 v[10:13], v[24:25], off
	v_fmac_f64_e32 v[18:19], v[2:3], v[14:15]
	v_fmac_f64_e32 v[20:21], v[4:5], v[14:15]
	s_wait_loadcnt 0x0
	s_delay_alu instid0(VALU_DEP_2) | instskip(NEXT) | instid1(VALU_DEP_2)
	v_fmac_f64_e32 v[18:19], v[6:7], v[10:11]
	v_fmac_f64_e32 v[20:21], v[8:9], v[10:11]
	s_delay_alu instid0(VALU_DEP_2) | instskip(NEXT) | instid1(VALU_DEP_2)
	v_fma_f64 v[18:19], -v[8:9], v[12:13], v[18:19]
	v_fmac_f64_e32 v[20:21], v[6:7], v[12:13]
	global_store_b128 v[24:25], v[18:21], off
.LBB38_41:
	s_and_not1_b32 vcc_lo, exec_lo, s1
                                        ; implicit-def: $vgpr24_vgpr25
                                        ; implicit-def: $vgpr10
	s_cbranch_vccnz .LBB38_43
; %bb.42:
	v_mul_u64_e32 v[0:1], s[2:3], v[0:1]
	s_wait_xcnt 0x0
	v_mul_f64_e64 v[18:19], v[16:17], -v[4:5]
	v_mul_f64_e32 v[16:17], v[2:3], v[16:17]
                                        ; implicit-def: $vgpr24_vgpr25
	s_delay_alu instid0(VALU_DEP_3) | instskip(NEXT) | instid1(VALU_DEP_3)
	v_lshl_add_u64 v[0:1], v[0:1], 4, v[22:23]
	v_fmac_f64_e32 v[18:19], v[2:3], v[14:15]
	s_delay_alu instid0(VALU_DEP_3) | instskip(SKIP_4) | instid1(VALU_DEP_2)
	v_fmac_f64_e32 v[16:17], v[4:5], v[14:15]
                                        ; implicit-def: $vgpr22_vgpr23
                                        ; implicit-def: $vgpr4_vgpr5
	global_load_b128 v[10:13], v[0:1], off
	s_wait_loadcnt 0x0
	v_fmac_f64_e32 v[18:19], v[6:7], v[10:11]
	v_fmac_f64_e32 v[16:17], v[8:9], v[10:11]
                                        ; implicit-def: $vgpr10
	v_fma_f64 v[14:15], -v[8:9], v[12:13], v[18:19]
	s_delay_alu instid0(VALU_DEP_2)
	v_fmac_f64_e32 v[16:17], v[6:7], v[12:13]
	global_store_b128 v[0:1], v[14:17], off
                                        ; implicit-def: $vgpr0
                                        ; implicit-def: $vgpr14_vgpr15
                                        ; implicit-def: $vgpr16_vgpr17
.LBB38_43:
	s_wait_xcnt 0x0
	s_and_not1_saveexec_b32 s0, s0
	s_cbranch_execz .LBB38_48
; %bb.44:
	v_mul_f64_e64 v[6:7], v[16:17], -v[4:5]
	v_mul_f64_e32 v[8:9], v[2:3], v[16:17]
	v_cmp_ne_u32_e32 vcc_lo, 1, v10
	s_mov_b32 s0, -1
	s_delay_alu instid0(VALU_DEP_3) | instskip(NEXT) | instid1(VALU_DEP_3)
	v_fmac_f64_e32 v[6:7], v[2:3], v[14:15]
	v_fmac_f64_e32 v[8:9], v[4:5], v[14:15]
	s_cbranch_vccnz .LBB38_46
; %bb.45:
	v_lshl_add_u64 v[2:3], v[0:1], 4, v[24:25]
	s_mov_b32 s0, 0
	global_store_b128 v[2:3], v[6:9], off
.LBB38_46:
	s_and_not1_b32 vcc_lo, exec_lo, s0
	s_cbranch_vccnz .LBB38_48
; %bb.47:
	v_mul_u64_e32 v[0:1], s[2:3], v[0:1]
	s_delay_alu instid0(VALU_DEP_1)
	v_lshl_add_u64 v[0:1], v[0:1], 4, v[22:23]
	global_store_b128 v[0:1], v[6:9], off
.LBB38_48:
	s_endpgm
	.section	.rodata,"a",@progbits
	.p2align	6, 0x0
	.amdhsa_kernel _ZN9rocsparseL31bsrmm_large_blockdim_kernel_extILj16ELj16ELj2Eii21rocsparse_complex_numIdES2_S2_S2_EEvb20rocsparse_direction_T3_S4_llNS_24const_host_device_scalarIT7_EEPKT2_PKS4_PKT4_S4_PKT5_llS7_PT6_ll16rocsparse_order_21rocsparse_index_base_b
		.amdhsa_group_segment_fixed_size 12288
		.amdhsa_private_segment_fixed_size 0
		.amdhsa_kernarg_size 156
		.amdhsa_user_sgpr_count 2
		.amdhsa_user_sgpr_dispatch_ptr 0
		.amdhsa_user_sgpr_queue_ptr 0
		.amdhsa_user_sgpr_kernarg_segment_ptr 1
		.amdhsa_user_sgpr_dispatch_id 0
		.amdhsa_user_sgpr_kernarg_preload_length 0
		.amdhsa_user_sgpr_kernarg_preload_offset 0
		.amdhsa_user_sgpr_private_segment_size 0
		.amdhsa_wavefront_size32 1
		.amdhsa_uses_dynamic_stack 0
		.amdhsa_enable_private_segment 0
		.amdhsa_system_sgpr_workgroup_id_x 1
		.amdhsa_system_sgpr_workgroup_id_y 1
		.amdhsa_system_sgpr_workgroup_id_z 0
		.amdhsa_system_sgpr_workgroup_info 0
		.amdhsa_system_vgpr_workitem_id 1
		.amdhsa_next_free_vgpr 44
		.amdhsa_next_free_sgpr 28
		.amdhsa_named_barrier_count 0
		.amdhsa_reserve_vcc 1
		.amdhsa_float_round_mode_32 0
		.amdhsa_float_round_mode_16_64 0
		.amdhsa_float_denorm_mode_32 3
		.amdhsa_float_denorm_mode_16_64 3
		.amdhsa_fp16_overflow 0
		.amdhsa_memory_ordered 1
		.amdhsa_forward_progress 1
		.amdhsa_inst_pref_size 16
		.amdhsa_round_robin_scheduling 0
		.amdhsa_exception_fp_ieee_invalid_op 0
		.amdhsa_exception_fp_denorm_src 0
		.amdhsa_exception_fp_ieee_div_zero 0
		.amdhsa_exception_fp_ieee_overflow 0
		.amdhsa_exception_fp_ieee_underflow 0
		.amdhsa_exception_fp_ieee_inexact 0
		.amdhsa_exception_int_div_zero 0
	.end_amdhsa_kernel
	.section	.text._ZN9rocsparseL31bsrmm_large_blockdim_kernel_extILj16ELj16ELj2Eii21rocsparse_complex_numIdES2_S2_S2_EEvb20rocsparse_direction_T3_S4_llNS_24const_host_device_scalarIT7_EEPKT2_PKS4_PKT4_S4_PKT5_llS7_PT6_ll16rocsparse_order_21rocsparse_index_base_b,"axG",@progbits,_ZN9rocsparseL31bsrmm_large_blockdim_kernel_extILj16ELj16ELj2Eii21rocsparse_complex_numIdES2_S2_S2_EEvb20rocsparse_direction_T3_S4_llNS_24const_host_device_scalarIT7_EEPKT2_PKS4_PKT4_S4_PKT5_llS7_PT6_ll16rocsparse_order_21rocsparse_index_base_b,comdat
.Lfunc_end38:
	.size	_ZN9rocsparseL31bsrmm_large_blockdim_kernel_extILj16ELj16ELj2Eii21rocsparse_complex_numIdES2_S2_S2_EEvb20rocsparse_direction_T3_S4_llNS_24const_host_device_scalarIT7_EEPKT2_PKS4_PKT4_S4_PKT5_llS7_PT6_ll16rocsparse_order_21rocsparse_index_base_b, .Lfunc_end38-_ZN9rocsparseL31bsrmm_large_blockdim_kernel_extILj16ELj16ELj2Eii21rocsparse_complex_numIdES2_S2_S2_EEvb20rocsparse_direction_T3_S4_llNS_24const_host_device_scalarIT7_EEPKT2_PKS4_PKT4_S4_PKT5_llS7_PT6_ll16rocsparse_order_21rocsparse_index_base_b
                                        ; -- End function
	.set _ZN9rocsparseL31bsrmm_large_blockdim_kernel_extILj16ELj16ELj2Eii21rocsparse_complex_numIdES2_S2_S2_EEvb20rocsparse_direction_T3_S4_llNS_24const_host_device_scalarIT7_EEPKT2_PKS4_PKT4_S4_PKT5_llS7_PT6_ll16rocsparse_order_21rocsparse_index_base_b.num_vgpr, 44
	.set _ZN9rocsparseL31bsrmm_large_blockdim_kernel_extILj16ELj16ELj2Eii21rocsparse_complex_numIdES2_S2_S2_EEvb20rocsparse_direction_T3_S4_llNS_24const_host_device_scalarIT7_EEPKT2_PKS4_PKT4_S4_PKT5_llS7_PT6_ll16rocsparse_order_21rocsparse_index_base_b.num_agpr, 0
	.set _ZN9rocsparseL31bsrmm_large_blockdim_kernel_extILj16ELj16ELj2Eii21rocsparse_complex_numIdES2_S2_S2_EEvb20rocsparse_direction_T3_S4_llNS_24const_host_device_scalarIT7_EEPKT2_PKS4_PKT4_S4_PKT5_llS7_PT6_ll16rocsparse_order_21rocsparse_index_base_b.numbered_sgpr, 28
	.set _ZN9rocsparseL31bsrmm_large_blockdim_kernel_extILj16ELj16ELj2Eii21rocsparse_complex_numIdES2_S2_S2_EEvb20rocsparse_direction_T3_S4_llNS_24const_host_device_scalarIT7_EEPKT2_PKS4_PKT4_S4_PKT5_llS7_PT6_ll16rocsparse_order_21rocsparse_index_base_b.num_named_barrier, 0
	.set _ZN9rocsparseL31bsrmm_large_blockdim_kernel_extILj16ELj16ELj2Eii21rocsparse_complex_numIdES2_S2_S2_EEvb20rocsparse_direction_T3_S4_llNS_24const_host_device_scalarIT7_EEPKT2_PKS4_PKT4_S4_PKT5_llS7_PT6_ll16rocsparse_order_21rocsparse_index_base_b.private_seg_size, 0
	.set _ZN9rocsparseL31bsrmm_large_blockdim_kernel_extILj16ELj16ELj2Eii21rocsparse_complex_numIdES2_S2_S2_EEvb20rocsparse_direction_T3_S4_llNS_24const_host_device_scalarIT7_EEPKT2_PKS4_PKT4_S4_PKT5_llS7_PT6_ll16rocsparse_order_21rocsparse_index_base_b.uses_vcc, 1
	.set _ZN9rocsparseL31bsrmm_large_blockdim_kernel_extILj16ELj16ELj2Eii21rocsparse_complex_numIdES2_S2_S2_EEvb20rocsparse_direction_T3_S4_llNS_24const_host_device_scalarIT7_EEPKT2_PKS4_PKT4_S4_PKT5_llS7_PT6_ll16rocsparse_order_21rocsparse_index_base_b.uses_flat_scratch, 0
	.set _ZN9rocsparseL31bsrmm_large_blockdim_kernel_extILj16ELj16ELj2Eii21rocsparse_complex_numIdES2_S2_S2_EEvb20rocsparse_direction_T3_S4_llNS_24const_host_device_scalarIT7_EEPKT2_PKS4_PKT4_S4_PKT5_llS7_PT6_ll16rocsparse_order_21rocsparse_index_base_b.has_dyn_sized_stack, 0
	.set _ZN9rocsparseL31bsrmm_large_blockdim_kernel_extILj16ELj16ELj2Eii21rocsparse_complex_numIdES2_S2_S2_EEvb20rocsparse_direction_T3_S4_llNS_24const_host_device_scalarIT7_EEPKT2_PKS4_PKT4_S4_PKT5_llS7_PT6_ll16rocsparse_order_21rocsparse_index_base_b.has_recursion, 0
	.set _ZN9rocsparseL31bsrmm_large_blockdim_kernel_extILj16ELj16ELj2Eii21rocsparse_complex_numIdES2_S2_S2_EEvb20rocsparse_direction_T3_S4_llNS_24const_host_device_scalarIT7_EEPKT2_PKS4_PKT4_S4_PKT5_llS7_PT6_ll16rocsparse_order_21rocsparse_index_base_b.has_indirect_call, 0
	.section	.AMDGPU.csdata,"",@progbits
; Kernel info:
; codeLenInByte = 1952
; TotalNumSgprs: 30
; NumVgprs: 44
; ScratchSize: 0
; MemoryBound: 0
; FloatMode: 240
; IeeeMode: 1
; LDSByteSize: 12288 bytes/workgroup (compile time only)
; SGPRBlocks: 0
; VGPRBlocks: 2
; NumSGPRsForWavesPerEU: 30
; NumVGPRsForWavesPerEU: 44
; NamedBarCnt: 0
; Occupancy: 16
; WaveLimiterHint : 0
; COMPUTE_PGM_RSRC2:SCRATCH_EN: 0
; COMPUTE_PGM_RSRC2:USER_SGPR: 2
; COMPUTE_PGM_RSRC2:TRAP_HANDLER: 0
; COMPUTE_PGM_RSRC2:TGID_X_EN: 1
; COMPUTE_PGM_RSRC2:TGID_Y_EN: 1
; COMPUTE_PGM_RSRC2:TGID_Z_EN: 0
; COMPUTE_PGM_RSRC2:TIDIG_COMP_CNT: 1
	.section	.text._ZN9rocsparseL31bsrmm_large_blockdim_kernel_extILj32ELj32ELj2Eii21rocsparse_complex_numIdES2_S2_S2_EEvb20rocsparse_direction_T3_S4_llNS_24const_host_device_scalarIT7_EEPKT2_PKS4_PKT4_S4_PKT5_llS7_PT6_ll16rocsparse_order_21rocsparse_index_base_b,"axG",@progbits,_ZN9rocsparseL31bsrmm_large_blockdim_kernel_extILj32ELj32ELj2Eii21rocsparse_complex_numIdES2_S2_S2_EEvb20rocsparse_direction_T3_S4_llNS_24const_host_device_scalarIT7_EEPKT2_PKS4_PKT4_S4_PKT5_llS7_PT6_ll16rocsparse_order_21rocsparse_index_base_b,comdat
	.globl	_ZN9rocsparseL31bsrmm_large_blockdim_kernel_extILj32ELj32ELj2Eii21rocsparse_complex_numIdES2_S2_S2_EEvb20rocsparse_direction_T3_S4_llNS_24const_host_device_scalarIT7_EEPKT2_PKS4_PKT4_S4_PKT5_llS7_PT6_ll16rocsparse_order_21rocsparse_index_base_b ; -- Begin function _ZN9rocsparseL31bsrmm_large_blockdim_kernel_extILj32ELj32ELj2Eii21rocsparse_complex_numIdES2_S2_S2_EEvb20rocsparse_direction_T3_S4_llNS_24const_host_device_scalarIT7_EEPKT2_PKS4_PKT4_S4_PKT5_llS7_PT6_ll16rocsparse_order_21rocsparse_index_base_b
	.p2align	8
	.type	_ZN9rocsparseL31bsrmm_large_blockdim_kernel_extILj32ELj32ELj2Eii21rocsparse_complex_numIdES2_S2_S2_EEvb20rocsparse_direction_T3_S4_llNS_24const_host_device_scalarIT7_EEPKT2_PKS4_PKT4_S4_PKT5_llS7_PT6_ll16rocsparse_order_21rocsparse_index_base_b,@function
_ZN9rocsparseL31bsrmm_large_blockdim_kernel_extILj32ELj32ELj2Eii21rocsparse_complex_numIdES2_S2_S2_EEvb20rocsparse_direction_T3_S4_llNS_24const_host_device_scalarIT7_EEPKT2_PKS4_PKT4_S4_PKT5_llS7_PT6_ll16rocsparse_order_21rocsparse_index_base_b: ; @_ZN9rocsparseL31bsrmm_large_blockdim_kernel_extILj32ELj32ELj2Eii21rocsparse_complex_numIdES2_S2_S2_EEvb20rocsparse_direction_T3_S4_llNS_24const_host_device_scalarIT7_EEPKT2_PKS4_PKT4_S4_PKT5_llS7_PT6_ll16rocsparse_order_21rocsparse_index_base_b
; %bb.0:
	s_clause 0x1
	s_load_b96 s[20:22], s[0:1], 0x90
	s_load_b64 s[2:3], s[0:1], 0x20
	v_mov_b32_e32 v1, 0
	s_add_nc_u64 s[4:5], s[0:1], 32
	s_load_b64 s[6:7], s[0:1], 0x68
	s_wait_kmcnt 0x0
	s_bitcmp1_b32 s22, 0
	s_cselect_b32 s3, s5, s3
	s_cselect_b32 s2, s4, s2
	flat_load_b128 v[2:5], v1, s[2:3]
	s_wait_xcnt 0x0
	s_add_nc_u64 s[2:3], s[0:1], 0x68
	s_delay_alu instid0(SALU_CYCLE_1)
	s_cselect_b32 s3, s3, s7
	s_cselect_b32 s2, s2, s6
	flat_load_b128 v[6:9], v1, s[2:3]
	s_wait_loadcnt_dscnt 0x101
	v_cmp_eq_f64_e32 vcc_lo, 0, v[2:3]
	s_wait_xcnt 0x0
	v_cmp_eq_f64_e64 s2, 0, v[4:5]
	s_and_b32 s4, vcc_lo, s2
	s_mov_b32 s2, -1
	s_and_saveexec_b32 s3, s4
	s_cbranch_execz .LBB39_2
; %bb.1:
	s_wait_loadcnt_dscnt 0x0
	v_cmp_neq_f64_e32 vcc_lo, 1.0, v[6:7]
	v_cmp_neq_f64_e64 s2, 0, v[8:9]
	s_or_b32 s2, vcc_lo, s2
	s_delay_alu instid0(SALU_CYCLE_1)
	s_or_not1_b32 s2, s2, exec_lo
.LBB39_2:
	s_or_b32 exec_lo, exec_lo, s3
	s_and_saveexec_b32 s3, s2
	s_cbranch_execz .LBB39_48
; %bb.3:
	s_clause 0x1
	s_load_b128 s[8:11], s[0:1], 0x0
	s_load_b64 s[2:3], s[0:1], 0x30
	s_bfe_u32 s4, ttmp6, 0x4000c
	s_and_b32 s5, ttmp6, 15
	s_add_co_i32 s4, s4, 1
	s_mov_b32 s25, 0
	s_mul_i32 s6, ttmp9, s4
	s_getreg_b32 s4, hwreg(HW_REG_IB_STS2, 6, 4)
	s_add_co_i32 s5, s5, s6
	s_cmp_eq_u32 s4, 0
	s_mov_b32 s22, 0
	s_cselect_b32 s6, ttmp9, s5
	s_wait_kmcnt 0x0
	s_cmp_lt_i32 s6, s10
	s_cselect_b32 s24, -1, 0
	s_cmp_ge_i32 s6, s10
	s_cbranch_scc1 .LBB39_5
; %bb.4:
	s_ashr_i32 s7, s6, 31
	s_delay_alu instid0(SALU_CYCLE_1) | instskip(NEXT) | instid1(SALU_CYCLE_1)
	s_lshl_b64 s[12:13], s[6:7], 2
	s_add_nc_u64 s[12:13], s[2:3], s[12:13]
	s_load_b32 s5, s[12:13], 0x0
	s_wait_kmcnt 0x0
	s_sub_co_i32 s22, s5, s21
.LBB39_5:
	s_and_not1_b32 vcc_lo, exec_lo, s24
	s_cbranch_vccnz .LBB39_7
; %bb.6:
	s_ashr_i32 s7, s6, 31
	s_delay_alu instid0(SALU_CYCLE_1) | instskip(NEXT) | instid1(SALU_CYCLE_1)
	s_lshl_b64 s[12:13], s[6:7], 2
	s_add_nc_u64 s[2:3], s[2:3], s[12:13]
	s_load_b32 s2, s[2:3], 0x4
	s_wait_kmcnt 0x0
	s_sub_co_i32 s25, s2, s21
.LBB39_7:
	s_bfe_u32 s2, ttmp6, 0x40010
	s_bfe_u32 s3, ttmp6, 0x40004
	s_add_co_i32 s2, s2, 1
	s_load_b32 s7, s[0:1], 0x48
	s_mul_i32 s2, ttmp7, s2
	v_bfe_u32 v24, v0, 10, 10
	s_add_co_i32 s3, s3, s2
	s_cmp_eq_u32 s4, 0
	v_and_b32_e32 v28, 0x3ff, v0
	s_cselect_b32 s2, ttmp7, s3
	v_mov_b64_e32 v[20:21], 0
	v_lshl_add_u32 v18, s2, 6, v24
	v_mov_b64_e32 v[12:13], 0
	v_mov_b64_e32 v[14:15], 0
	;; [unrolled: 1-line block ×3, first 2 shown]
	s_cmp_ge_i32 s22, s25
	v_add_nc_u32_e32 v0, 32, v18
	v_cmp_gt_i32_e64 s2, s11, v18
	s_delay_alu instid0(VALU_DEP_2)
	v_cmp_gt_i32_e64 s3, s11, v0
	s_wait_kmcnt 0x0
	v_cmp_gt_i32_e32 vcc_lo, s7, v28
	s_cbranch_scc1 .LBB39_25
; %bb.8:
	s_clause 0x1
	s_load_b128 s[12:15], s[0:1], 0x50
	s_load_b128 s[16:19], s[0:1], 0x38
	v_dual_ashrrev_i32 v19, 31, v18 :: v_dual_ashrrev_i32 v1, 31, v0
	v_cmp_gt_i32_e64 s4, s7, v24
	v_mad_u32 v25, s7, v24, v28
	v_mad_u32 v26, s7, v28, v24
	v_lshl_add_u32 v31, v28, 9, 0x8000
	v_mov_b64_e32 v[16:17], 0
	s_and_b32 s10, vcc_lo, s4
	s_bitcmp1_b32 s8, 0
	v_mov_b64_e32 v[14:15], 0
	s_cselect_b32 s4, -1, 0
	s_cmp_eq_u32 s9, 0
	v_mov_b64_e32 v[12:13], 0
	s_cselect_b32 s5, -1, 0
	s_delay_alu instid0(SALU_CYCLE_1)
	v_dual_lshlrev_b32 v29, 9, v24 :: v_dual_cndmask_b32 v34, v25, v26, s5
	v_mov_b64_e32 v[20:21], 0
	v_lshl_add_u32 v32, v24, 4, v31
	s_wait_kmcnt 0x0
	v_mul_u64_e32 v[10:11], s[14:15], v[18:19]
	v_mul_u64_e32 v[22:23], s[14:15], v[0:1]
	v_lshl_add_u32 v30, v28, 4, v29
	v_add_nc_u32_e32 v35, 0x4000, v29
	s_mul_i32 s5, s7, s7
	s_delay_alu instid0(VALU_DEP_2)
	v_add_nc_u32_e32 v33, 0x4000, v30
	s_branch .LBB39_11
.LBB39_9:                               ;   in Loop: Header=BB39_11 Depth=1
	s_or_b32 exec_lo, exec_lo, s9
.LBB39_10:                              ;   in Loop: Header=BB39_11 Depth=1
	s_delay_alu instid0(SALU_CYCLE_1) | instskip(SKIP_1) | instid1(SALU_CYCLE_1)
	s_or_b32 exec_lo, exec_lo, s8
	s_add_co_i32 s22, s22, 1
	s_cmp_ge_i32 s22, s25
	s_barrier_signal -1
	s_barrier_wait -1
	s_cbranch_scc1 .LBB39_25
.LBB39_11:                              ; =>This Loop Header: Depth=1
                                        ;     Child Loop BB39_21 Depth 2
                                        ;     Child Loop BB39_24 Depth 2
	s_and_saveexec_b32 s8, vcc_lo
	s_cbranch_execz .LBB39_16
; %bb.12:                               ;   in Loop: Header=BB39_11 Depth=1
	s_ashr_i32 s23, s22, 31
	s_delay_alu instid0(SALU_CYCLE_1) | instskip(NEXT) | instid1(SALU_CYCLE_1)
	s_lshl_b64 s[26:27], s[22:23], 2
	s_add_nc_u64 s[26:27], s[16:17], s[26:27]
	s_load_b32 s9, s[26:27], 0x0
	s_wait_kmcnt 0x0
	s_sub_co_i32 s9, s9, s21
	s_delay_alu instid0(SALU_CYCLE_1) | instskip(NEXT) | instid1(VALU_DEP_1)
	v_mad_u32 v26, s9, s7, v28
	v_ashrrev_i32_e32 v27, 31, v26
	s_delay_alu instid0(VALU_DEP_1) | instskip(SKIP_1) | instid1(VALU_DEP_2)
	v_mul_u64_e32 v[24:25], s[14:15], v[26:27]
	v_lshl_add_u64 v[26:27], v[26:27], 4, s[12:13]
	v_lshl_add_u64 v[24:25], v[24:25], 4, s[12:13]
	s_and_saveexec_b32 s9, s2
	s_cbranch_execz .LBB39_14
; %bb.13:                               ;   in Loop: Header=BB39_11 Depth=1
	s_delay_alu instid0(VALU_DEP_2) | instskip(NEXT) | instid1(VALU_DEP_2)
	v_lshl_add_u64 v[36:37], v[10:11], 4, v[26:27]
	v_lshl_add_u64 v[38:39], v[18:19], 4, v[24:25]
	s_delay_alu instid0(VALU_DEP_1)
	v_dual_cndmask_b32 v37, v39, v37, s4 :: v_dual_cndmask_b32 v36, v38, v36, s4
	global_load_b128 v[36:39], v[36:37], off
	s_wait_loadcnt 0x0
	ds_store_2addr_b64 v30, v[36:37], v[38:39] offset1:1
.LBB39_14:                              ;   in Loop: Header=BB39_11 Depth=1
	s_or_b32 exec_lo, exec_lo, s9
	s_delay_alu instid0(SALU_CYCLE_1)
	s_and_b32 exec_lo, exec_lo, s3
	s_cbranch_execz .LBB39_16
; %bb.15:                               ;   in Loop: Header=BB39_11 Depth=1
	v_lshl_add_u64 v[26:27], v[22:23], 4, v[26:27]
	v_lshl_add_u64 v[24:25], v[0:1], 4, v[24:25]
	s_delay_alu instid0(VALU_DEP_1)
	v_dual_cndmask_b32 v25, v25, v27, s4 :: v_dual_cndmask_b32 v24, v24, v26, s4
	global_load_b128 v[24:27], v[24:25], off
	s_wait_loadcnt 0x0
	ds_store_2addr_b64 v33, v[24:25], v[26:27] offset1:1
.LBB39_16:                              ;   in Loop: Header=BB39_11 Depth=1
	s_or_b32 exec_lo, exec_lo, s8
	s_and_saveexec_b32 s8, s10
	s_cbranch_execz .LBB39_18
; %bb.17:                               ;   in Loop: Header=BB39_11 Depth=1
	v_mad_u32 v24, s5, s22, v34
	global_load_b128 v[24:27], v24, s[18:19] scale_offset
	s_wait_loadcnt 0x0
	ds_store_2addr_b64 v32, v[24:25], v[26:27] offset1:1
.LBB39_18:                              ;   in Loop: Header=BB39_11 Depth=1
	s_or_b32 exec_lo, exec_lo, s8
	s_wait_loadcnt_dscnt 0x0
	s_barrier_signal -1
	s_barrier_wait -1
	s_and_saveexec_b32 s8, vcc_lo
	s_cbranch_execz .LBB39_10
; %bb.19:                               ;   in Loop: Header=BB39_11 Depth=1
	s_and_saveexec_b32 s9, s2
	s_cbranch_execz .LBB39_22
; %bb.20:                               ;   in Loop: Header=BB39_11 Depth=1
	v_dual_mov_b32 v24, v31 :: v_dual_mov_b32 v25, v29
	s_mov_b32 s23, s7
.LBB39_21:                              ;   Parent Loop BB39_11 Depth=1
                                        ; =>  This Inner Loop Header: Depth=2
	ds_load_b128 v[36:39], v24
	ds_load_b128 v[40:43], v25
	v_add_nc_u32_e32 v24, 16, v24
	s_add_co_i32 s23, s23, -1
	v_add_nc_u32_e32 v25, 16, v25
	s_cmp_lg_u32 s23, 0
	s_wait_dscnt 0x0
	v_fmac_f64_e32 v[20:21], v[36:37], v[40:41]
	v_fmac_f64_e32 v[12:13], v[38:39], v[40:41]
	s_delay_alu instid0(VALU_DEP_2) | instskip(NEXT) | instid1(VALU_DEP_2)
	v_fma_f64 v[20:21], -v[38:39], v[42:43], v[20:21]
	v_fmac_f64_e32 v[12:13], v[36:37], v[42:43]
	s_cbranch_scc1 .LBB39_21
.LBB39_22:                              ;   in Loop: Header=BB39_11 Depth=1
	s_or_b32 exec_lo, exec_lo, s9
	s_and_saveexec_b32 s9, s3
	s_cbranch_execz .LBB39_9
; %bb.23:                               ;   in Loop: Header=BB39_11 Depth=1
	v_dual_mov_b32 v24, v31 :: v_dual_mov_b32 v25, v35
	s_mov_b32 s23, s7
.LBB39_24:                              ;   Parent Loop BB39_11 Depth=1
                                        ; =>  This Inner Loop Header: Depth=2
	ds_load_b128 v[36:39], v24
	ds_load_b128 v[40:43], v25
	v_add_nc_u32_e32 v24, 16, v24
	s_add_co_i32 s23, s23, -1
	v_add_nc_u32_e32 v25, 16, v25
	s_cmp_lg_u32 s23, 0
	s_wait_dscnt 0x0
	v_fmac_f64_e32 v[14:15], v[36:37], v[40:41]
	v_fmac_f64_e32 v[16:17], v[38:39], v[40:41]
	s_delay_alu instid0(VALU_DEP_2) | instskip(NEXT) | instid1(VALU_DEP_2)
	v_fma_f64 v[14:15], -v[38:39], v[42:43], v[14:15]
	v_fmac_f64_e32 v[16:17], v[36:37], v[42:43]
	s_cbranch_scc1 .LBB39_24
	s_branch .LBB39_9
.LBB39_25:
	s_load_b64 s[4:5], s[0:1], 0x78
	s_and_b32 s2, s24, vcc_lo
	s_delay_alu instid0(SALU_CYCLE_1)
	s_and_b32 exec_lo, exec_lo, s2
	s_cbranch_execz .LBB39_48
; %bb.26:
	s_load_b64 s[2:3], s[0:1], 0x80
	v_mad_u32 v10, s7, s6, v28
	s_wait_loadcnt_dscnt 0x0
	v_cmp_neq_f64_e32 vcc_lo, 0, v[6:7]
	s_wait_xcnt 0x0
	v_cmp_neq_f64_e64 s0, 0, v[8:9]
	s_delay_alu instid0(VALU_DEP_3) | instskip(SKIP_1) | instid1(VALU_DEP_1)
	v_ashrrev_i32_e32 v11, 31, v10
	s_wait_kmcnt 0x0
	v_lshl_add_u64 v[22:23], v[10:11], 4, s[4:5]
	v_mul_u64_e32 v[24:25], s[2:3], v[10:11]
	s_or_b32 s0, vcc_lo, s0
	s_cmp_lg_u32 s20, 1
	s_cselect_b32 s1, -1, 0
	s_delay_alu instid0(VALU_DEP_1)
	v_lshl_add_u64 v[24:25], v[24:25], 4, s[4:5]
	s_mov_b32 s4, exec_lo
	v_cmpx_gt_i32_e64 s11, v18
	s_cbranch_execz .LBB39_37
; %bb.27:
	v_ashrrev_i32_e32 v19, 31, v18
	s_and_saveexec_b32 s5, s0
	s_delay_alu instid0(SALU_CYCLE_1)
	s_xor_b32 s5, exec_lo, s5
	s_cbranch_execz .LBB39_32
; %bb.28:
	s_and_b32 vcc_lo, exec_lo, s1
	s_mov_b32 s6, -1
	s_cbranch_vccz .LBB39_30
; %bb.29:
	v_lshl_add_u64 v[10:11], v[18:19], 4, v[24:25]
	v_mul_f64_e64 v[30:31], v[12:13], -v[4:5]
	v_mul_f64_e32 v[32:33], v[2:3], v[12:13]
	s_mov_b32 s6, 0
	global_load_b128 v[26:29], v[10:11], off
	v_fmac_f64_e32 v[30:31], v[2:3], v[20:21]
	v_fmac_f64_e32 v[32:33], v[4:5], v[20:21]
	s_wait_loadcnt 0x0
	s_delay_alu instid0(VALU_DEP_2) | instskip(NEXT) | instid1(VALU_DEP_2)
	v_fmac_f64_e32 v[30:31], v[6:7], v[26:27]
	v_fmac_f64_e32 v[32:33], v[8:9], v[26:27]
	s_delay_alu instid0(VALU_DEP_2) | instskip(NEXT) | instid1(VALU_DEP_2)
	v_fma_f64 v[30:31], -v[8:9], v[28:29], v[30:31]
	v_fmac_f64_e32 v[32:33], v[6:7], v[28:29]
	global_store_b128 v[10:11], v[30:33], off
.LBB39_30:
	s_and_not1_b32 vcc_lo, exec_lo, s6
	s_cbranch_vccnz .LBB39_32
; %bb.31:
	s_wait_xcnt 0x0
	v_mul_u64_e32 v[10:11], s[2:3], v[18:19]
	s_delay_alu instid0(VALU_DEP_1)
	v_lshl_add_u64 v[18:19], v[10:11], 4, v[22:23]
	v_mul_f64_e64 v[10:11], v[12:13], -v[4:5]
	v_mul_f64_e32 v[12:13], v[2:3], v[12:13]
	global_load_b128 v[26:29], v[18:19], off
	v_fmac_f64_e32 v[10:11], v[2:3], v[20:21]
	v_fmac_f64_e32 v[12:13], v[4:5], v[20:21]
                                        ; implicit-def: $vgpr20_vgpr21
	s_wait_loadcnt 0x0
	s_delay_alu instid0(VALU_DEP_2) | instskip(NEXT) | instid1(VALU_DEP_2)
	v_fmac_f64_e32 v[10:11], v[6:7], v[26:27]
	v_fmac_f64_e32 v[12:13], v[8:9], v[26:27]
	s_delay_alu instid0(VALU_DEP_2) | instskip(NEXT) | instid1(VALU_DEP_2)
	v_fma_f64 v[10:11], -v[8:9], v[28:29], v[10:11]
	v_fmac_f64_e32 v[12:13], v[6:7], v[28:29]
	global_store_b128 v[18:19], v[10:13], off
                                        ; implicit-def: $vgpr12_vgpr13
                                        ; implicit-def: $vgpr18
.LBB39_32:
	s_wait_xcnt 0x0
	s_and_not1_saveexec_b32 s5, s5
	s_cbranch_execz .LBB39_37
; %bb.33:
	v_mul_f64_e64 v[10:11], v[12:13], -v[4:5]
	v_mul_f64_e32 v[12:13], v[2:3], v[12:13]
	s_and_b32 vcc_lo, exec_lo, s1
	s_mov_b32 s5, -1
	s_delay_alu instid0(VALU_DEP_2) | instskip(NEXT) | instid1(VALU_DEP_2)
	v_fmac_f64_e32 v[10:11], v[2:3], v[20:21]
	v_fmac_f64_e32 v[12:13], v[4:5], v[20:21]
	s_cbranch_vccz .LBB39_35
; %bb.34:
	v_lshl_add_u64 v[20:21], v[18:19], 4, v[24:25]
	s_mov_b32 s5, 0
	global_store_b128 v[20:21], v[10:13], off
.LBB39_35:
	s_and_not1_b32 vcc_lo, exec_lo, s5
	s_cbranch_vccnz .LBB39_37
; %bb.36:
	v_mul_u64_e32 v[18:19], s[2:3], v[18:19]
	s_delay_alu instid0(VALU_DEP_1)
	v_lshl_add_u64 v[18:19], v[18:19], 4, v[22:23]
	global_store_b128 v[18:19], v[10:13], off
.LBB39_37:
	s_wait_xcnt 0x0
	s_or_b32 exec_lo, exec_lo, s4
	v_cmp_gt_i32_e32 vcc_lo, s11, v0
	s_and_b32 exec_lo, exec_lo, vcc_lo
	s_cbranch_execz .LBB39_48
; %bb.38:
	v_ashrrev_i32_e32 v1, 31, v0
	v_cndmask_b32_e64 v10, 0, 1, s1
	s_and_saveexec_b32 s1, s0
	s_delay_alu instid0(SALU_CYCLE_1)
	s_xor_b32 s0, exec_lo, s1
	s_cbranch_execz .LBB39_43
; %bb.39:
	s_delay_alu instid0(VALU_DEP_1)
	v_cmp_ne_u32_e32 vcc_lo, 1, v10
	s_mov_b32 s1, -1
	s_cbranch_vccnz .LBB39_41
; %bb.40:
	v_lshl_add_u64 v[24:25], v[0:1], 4, v[24:25]
	v_mul_f64_e64 v[18:19], v[16:17], -v[4:5]
	v_mul_f64_e32 v[20:21], v[2:3], v[16:17]
	s_mov_b32 s1, 0
	global_load_b128 v[10:13], v[24:25], off
	v_fmac_f64_e32 v[18:19], v[2:3], v[14:15]
	v_fmac_f64_e32 v[20:21], v[4:5], v[14:15]
	s_wait_loadcnt 0x0
	s_delay_alu instid0(VALU_DEP_2) | instskip(NEXT) | instid1(VALU_DEP_2)
	v_fmac_f64_e32 v[18:19], v[6:7], v[10:11]
	v_fmac_f64_e32 v[20:21], v[8:9], v[10:11]
	s_delay_alu instid0(VALU_DEP_2) | instskip(NEXT) | instid1(VALU_DEP_2)
	v_fma_f64 v[18:19], -v[8:9], v[12:13], v[18:19]
	v_fmac_f64_e32 v[20:21], v[6:7], v[12:13]
	global_store_b128 v[24:25], v[18:21], off
.LBB39_41:
	s_and_not1_b32 vcc_lo, exec_lo, s1
                                        ; implicit-def: $vgpr24_vgpr25
                                        ; implicit-def: $vgpr10
	s_cbranch_vccnz .LBB39_43
; %bb.42:
	v_mul_u64_e32 v[0:1], s[2:3], v[0:1]
	s_wait_xcnt 0x0
	v_mul_f64_e64 v[18:19], v[16:17], -v[4:5]
	v_mul_f64_e32 v[16:17], v[2:3], v[16:17]
                                        ; implicit-def: $vgpr24_vgpr25
	s_delay_alu instid0(VALU_DEP_3) | instskip(NEXT) | instid1(VALU_DEP_3)
	v_lshl_add_u64 v[0:1], v[0:1], 4, v[22:23]
	v_fmac_f64_e32 v[18:19], v[2:3], v[14:15]
	s_delay_alu instid0(VALU_DEP_3) | instskip(SKIP_4) | instid1(VALU_DEP_2)
	v_fmac_f64_e32 v[16:17], v[4:5], v[14:15]
                                        ; implicit-def: $vgpr22_vgpr23
                                        ; implicit-def: $vgpr4_vgpr5
	global_load_b128 v[10:13], v[0:1], off
	s_wait_loadcnt 0x0
	v_fmac_f64_e32 v[18:19], v[6:7], v[10:11]
	v_fmac_f64_e32 v[16:17], v[8:9], v[10:11]
                                        ; implicit-def: $vgpr10
	v_fma_f64 v[14:15], -v[8:9], v[12:13], v[18:19]
	s_delay_alu instid0(VALU_DEP_2)
	v_fmac_f64_e32 v[16:17], v[6:7], v[12:13]
	global_store_b128 v[0:1], v[14:17], off
                                        ; implicit-def: $vgpr0
                                        ; implicit-def: $vgpr14_vgpr15
                                        ; implicit-def: $vgpr16_vgpr17
.LBB39_43:
	s_wait_xcnt 0x0
	s_and_not1_saveexec_b32 s0, s0
	s_cbranch_execz .LBB39_48
; %bb.44:
	v_mul_f64_e64 v[6:7], v[16:17], -v[4:5]
	v_mul_f64_e32 v[8:9], v[2:3], v[16:17]
	v_cmp_ne_u32_e32 vcc_lo, 1, v10
	s_mov_b32 s0, -1
	s_delay_alu instid0(VALU_DEP_3) | instskip(NEXT) | instid1(VALU_DEP_3)
	v_fmac_f64_e32 v[6:7], v[2:3], v[14:15]
	v_fmac_f64_e32 v[8:9], v[4:5], v[14:15]
	s_cbranch_vccnz .LBB39_46
; %bb.45:
	v_lshl_add_u64 v[2:3], v[0:1], 4, v[24:25]
	s_mov_b32 s0, 0
	global_store_b128 v[2:3], v[6:9], off
.LBB39_46:
	s_and_not1_b32 vcc_lo, exec_lo, s0
	s_cbranch_vccnz .LBB39_48
; %bb.47:
	v_mul_u64_e32 v[0:1], s[2:3], v[0:1]
	s_delay_alu instid0(VALU_DEP_1)
	v_lshl_add_u64 v[0:1], v[0:1], 4, v[22:23]
	global_store_b128 v[0:1], v[6:9], off
.LBB39_48:
	s_endpgm
	.section	.rodata,"a",@progbits
	.p2align	6, 0x0
	.amdhsa_kernel _ZN9rocsparseL31bsrmm_large_blockdim_kernel_extILj32ELj32ELj2Eii21rocsparse_complex_numIdES2_S2_S2_EEvb20rocsparse_direction_T3_S4_llNS_24const_host_device_scalarIT7_EEPKT2_PKS4_PKT4_S4_PKT5_llS7_PT6_ll16rocsparse_order_21rocsparse_index_base_b
		.amdhsa_group_segment_fixed_size 49152
		.amdhsa_private_segment_fixed_size 0
		.amdhsa_kernarg_size 156
		.amdhsa_user_sgpr_count 2
		.amdhsa_user_sgpr_dispatch_ptr 0
		.amdhsa_user_sgpr_queue_ptr 0
		.amdhsa_user_sgpr_kernarg_segment_ptr 1
		.amdhsa_user_sgpr_dispatch_id 0
		.amdhsa_user_sgpr_kernarg_preload_length 0
		.amdhsa_user_sgpr_kernarg_preload_offset 0
		.amdhsa_user_sgpr_private_segment_size 0
		.amdhsa_wavefront_size32 1
		.amdhsa_uses_dynamic_stack 0
		.amdhsa_enable_private_segment 0
		.amdhsa_system_sgpr_workgroup_id_x 1
		.amdhsa_system_sgpr_workgroup_id_y 1
		.amdhsa_system_sgpr_workgroup_id_z 0
		.amdhsa_system_sgpr_workgroup_info 0
		.amdhsa_system_vgpr_workitem_id 1
		.amdhsa_next_free_vgpr 44
		.amdhsa_next_free_sgpr 28
		.amdhsa_named_barrier_count 0
		.amdhsa_reserve_vcc 1
		.amdhsa_float_round_mode_32 0
		.amdhsa_float_round_mode_16_64 0
		.amdhsa_float_denorm_mode_32 3
		.amdhsa_float_denorm_mode_16_64 3
		.amdhsa_fp16_overflow 0
		.amdhsa_memory_ordered 1
		.amdhsa_forward_progress 1
		.amdhsa_inst_pref_size 16
		.amdhsa_round_robin_scheduling 0
		.amdhsa_exception_fp_ieee_invalid_op 0
		.amdhsa_exception_fp_denorm_src 0
		.amdhsa_exception_fp_ieee_div_zero 0
		.amdhsa_exception_fp_ieee_overflow 0
		.amdhsa_exception_fp_ieee_underflow 0
		.amdhsa_exception_fp_ieee_inexact 0
		.amdhsa_exception_int_div_zero 0
	.end_amdhsa_kernel
	.section	.text._ZN9rocsparseL31bsrmm_large_blockdim_kernel_extILj32ELj32ELj2Eii21rocsparse_complex_numIdES2_S2_S2_EEvb20rocsparse_direction_T3_S4_llNS_24const_host_device_scalarIT7_EEPKT2_PKS4_PKT4_S4_PKT5_llS7_PT6_ll16rocsparse_order_21rocsparse_index_base_b,"axG",@progbits,_ZN9rocsparseL31bsrmm_large_blockdim_kernel_extILj32ELj32ELj2Eii21rocsparse_complex_numIdES2_S2_S2_EEvb20rocsparse_direction_T3_S4_llNS_24const_host_device_scalarIT7_EEPKT2_PKS4_PKT4_S4_PKT5_llS7_PT6_ll16rocsparse_order_21rocsparse_index_base_b,comdat
.Lfunc_end39:
	.size	_ZN9rocsparseL31bsrmm_large_blockdim_kernel_extILj32ELj32ELj2Eii21rocsparse_complex_numIdES2_S2_S2_EEvb20rocsparse_direction_T3_S4_llNS_24const_host_device_scalarIT7_EEPKT2_PKS4_PKT4_S4_PKT5_llS7_PT6_ll16rocsparse_order_21rocsparse_index_base_b, .Lfunc_end39-_ZN9rocsparseL31bsrmm_large_blockdim_kernel_extILj32ELj32ELj2Eii21rocsparse_complex_numIdES2_S2_S2_EEvb20rocsparse_direction_T3_S4_llNS_24const_host_device_scalarIT7_EEPKT2_PKS4_PKT4_S4_PKT5_llS7_PT6_ll16rocsparse_order_21rocsparse_index_base_b
                                        ; -- End function
	.set _ZN9rocsparseL31bsrmm_large_blockdim_kernel_extILj32ELj32ELj2Eii21rocsparse_complex_numIdES2_S2_S2_EEvb20rocsparse_direction_T3_S4_llNS_24const_host_device_scalarIT7_EEPKT2_PKS4_PKT4_S4_PKT5_llS7_PT6_ll16rocsparse_order_21rocsparse_index_base_b.num_vgpr, 44
	.set _ZN9rocsparseL31bsrmm_large_blockdim_kernel_extILj32ELj32ELj2Eii21rocsparse_complex_numIdES2_S2_S2_EEvb20rocsparse_direction_T3_S4_llNS_24const_host_device_scalarIT7_EEPKT2_PKS4_PKT4_S4_PKT5_llS7_PT6_ll16rocsparse_order_21rocsparse_index_base_b.num_agpr, 0
	.set _ZN9rocsparseL31bsrmm_large_blockdim_kernel_extILj32ELj32ELj2Eii21rocsparse_complex_numIdES2_S2_S2_EEvb20rocsparse_direction_T3_S4_llNS_24const_host_device_scalarIT7_EEPKT2_PKS4_PKT4_S4_PKT5_llS7_PT6_ll16rocsparse_order_21rocsparse_index_base_b.numbered_sgpr, 28
	.set _ZN9rocsparseL31bsrmm_large_blockdim_kernel_extILj32ELj32ELj2Eii21rocsparse_complex_numIdES2_S2_S2_EEvb20rocsparse_direction_T3_S4_llNS_24const_host_device_scalarIT7_EEPKT2_PKS4_PKT4_S4_PKT5_llS7_PT6_ll16rocsparse_order_21rocsparse_index_base_b.num_named_barrier, 0
	.set _ZN9rocsparseL31bsrmm_large_blockdim_kernel_extILj32ELj32ELj2Eii21rocsparse_complex_numIdES2_S2_S2_EEvb20rocsparse_direction_T3_S4_llNS_24const_host_device_scalarIT7_EEPKT2_PKS4_PKT4_S4_PKT5_llS7_PT6_ll16rocsparse_order_21rocsparse_index_base_b.private_seg_size, 0
	.set _ZN9rocsparseL31bsrmm_large_blockdim_kernel_extILj32ELj32ELj2Eii21rocsparse_complex_numIdES2_S2_S2_EEvb20rocsparse_direction_T3_S4_llNS_24const_host_device_scalarIT7_EEPKT2_PKS4_PKT4_S4_PKT5_llS7_PT6_ll16rocsparse_order_21rocsparse_index_base_b.uses_vcc, 1
	.set _ZN9rocsparseL31bsrmm_large_blockdim_kernel_extILj32ELj32ELj2Eii21rocsparse_complex_numIdES2_S2_S2_EEvb20rocsparse_direction_T3_S4_llNS_24const_host_device_scalarIT7_EEPKT2_PKS4_PKT4_S4_PKT5_llS7_PT6_ll16rocsparse_order_21rocsparse_index_base_b.uses_flat_scratch, 0
	.set _ZN9rocsparseL31bsrmm_large_blockdim_kernel_extILj32ELj32ELj2Eii21rocsparse_complex_numIdES2_S2_S2_EEvb20rocsparse_direction_T3_S4_llNS_24const_host_device_scalarIT7_EEPKT2_PKS4_PKT4_S4_PKT5_llS7_PT6_ll16rocsparse_order_21rocsparse_index_base_b.has_dyn_sized_stack, 0
	.set _ZN9rocsparseL31bsrmm_large_blockdim_kernel_extILj32ELj32ELj2Eii21rocsparse_complex_numIdES2_S2_S2_EEvb20rocsparse_direction_T3_S4_llNS_24const_host_device_scalarIT7_EEPKT2_PKS4_PKT4_S4_PKT5_llS7_PT6_ll16rocsparse_order_21rocsparse_index_base_b.has_recursion, 0
	.set _ZN9rocsparseL31bsrmm_large_blockdim_kernel_extILj32ELj32ELj2Eii21rocsparse_complex_numIdES2_S2_S2_EEvb20rocsparse_direction_T3_S4_llNS_24const_host_device_scalarIT7_EEPKT2_PKS4_PKT4_S4_PKT5_llS7_PT6_ll16rocsparse_order_21rocsparse_index_base_b.has_indirect_call, 0
	.section	.AMDGPU.csdata,"",@progbits
; Kernel info:
; codeLenInByte = 1952
; TotalNumSgprs: 30
; NumVgprs: 44
; ScratchSize: 0
; MemoryBound: 0
; FloatMode: 240
; IeeeMode: 1
; LDSByteSize: 49152 bytes/workgroup (compile time only)
; SGPRBlocks: 0
; VGPRBlocks: 2
; NumSGPRsForWavesPerEU: 30
; NumVGPRsForWavesPerEU: 44
; NamedBarCnt: 0
; Occupancy: 16
; WaveLimiterHint : 0
; COMPUTE_PGM_RSRC2:SCRATCH_EN: 0
; COMPUTE_PGM_RSRC2:USER_SGPR: 2
; COMPUTE_PGM_RSRC2:TRAP_HANDLER: 0
; COMPUTE_PGM_RSRC2:TGID_X_EN: 1
; COMPUTE_PGM_RSRC2:TGID_Y_EN: 1
; COMPUTE_PGM_RSRC2:TGID_Z_EN: 0
; COMPUTE_PGM_RSRC2:TIDIG_COMP_CNT: 1
	.section	.text._ZN9rocsparseL31bsrmm_large_blockdim_kernel_extILj8ELj8ELj2Eli21rocsparse_complex_numIdES2_S2_S2_EEvb20rocsparse_direction_T3_S4_llNS_24const_host_device_scalarIT7_EEPKT2_PKS4_PKT4_S4_PKT5_llS7_PT6_ll16rocsparse_order_21rocsparse_index_base_b,"axG",@progbits,_ZN9rocsparseL31bsrmm_large_blockdim_kernel_extILj8ELj8ELj2Eli21rocsparse_complex_numIdES2_S2_S2_EEvb20rocsparse_direction_T3_S4_llNS_24const_host_device_scalarIT7_EEPKT2_PKS4_PKT4_S4_PKT5_llS7_PT6_ll16rocsparse_order_21rocsparse_index_base_b,comdat
	.globl	_ZN9rocsparseL31bsrmm_large_blockdim_kernel_extILj8ELj8ELj2Eli21rocsparse_complex_numIdES2_S2_S2_EEvb20rocsparse_direction_T3_S4_llNS_24const_host_device_scalarIT7_EEPKT2_PKS4_PKT4_S4_PKT5_llS7_PT6_ll16rocsparse_order_21rocsparse_index_base_b ; -- Begin function _ZN9rocsparseL31bsrmm_large_blockdim_kernel_extILj8ELj8ELj2Eli21rocsparse_complex_numIdES2_S2_S2_EEvb20rocsparse_direction_T3_S4_llNS_24const_host_device_scalarIT7_EEPKT2_PKS4_PKT4_S4_PKT5_llS7_PT6_ll16rocsparse_order_21rocsparse_index_base_b
	.p2align	8
	.type	_ZN9rocsparseL31bsrmm_large_blockdim_kernel_extILj8ELj8ELj2Eli21rocsparse_complex_numIdES2_S2_S2_EEvb20rocsparse_direction_T3_S4_llNS_24const_host_device_scalarIT7_EEPKT2_PKS4_PKT4_S4_PKT5_llS7_PT6_ll16rocsparse_order_21rocsparse_index_base_b,@function
_ZN9rocsparseL31bsrmm_large_blockdim_kernel_extILj8ELj8ELj2Eli21rocsparse_complex_numIdES2_S2_S2_EEvb20rocsparse_direction_T3_S4_llNS_24const_host_device_scalarIT7_EEPKT2_PKS4_PKT4_S4_PKT5_llS7_PT6_ll16rocsparse_order_21rocsparse_index_base_b: ; @_ZN9rocsparseL31bsrmm_large_blockdim_kernel_extILj8ELj8ELj2Eli21rocsparse_complex_numIdES2_S2_S2_EEvb20rocsparse_direction_T3_S4_llNS_24const_host_device_scalarIT7_EEPKT2_PKS4_PKT4_S4_PKT5_llS7_PT6_ll16rocsparse_order_21rocsparse_index_base_b
; %bb.0:
	s_clause 0x1
	s_load_b96 s[20:22], s[0:1], 0x90
	s_load_b64 s[2:3], s[0:1], 0x20
	v_mov_b32_e32 v1, 0
	s_add_nc_u64 s[4:5], s[0:1], 32
	s_load_b64 s[6:7], s[0:1], 0x68
	s_wait_kmcnt 0x0
	s_bitcmp1_b32 s22, 0
	s_cselect_b32 s3, s5, s3
	s_cselect_b32 s2, s4, s2
	flat_load_b128 v[2:5], v1, s[2:3]
	s_wait_xcnt 0x0
	s_add_nc_u64 s[2:3], s[0:1], 0x68
	s_delay_alu instid0(SALU_CYCLE_1)
	s_cselect_b32 s3, s3, s7
	s_cselect_b32 s2, s2, s6
	flat_load_b128 v[6:9], v1, s[2:3]
	s_wait_loadcnt_dscnt 0x101
	v_cmp_eq_f64_e32 vcc_lo, 0, v[2:3]
	s_wait_xcnt 0x0
	v_cmp_eq_f64_e64 s2, 0, v[4:5]
	s_and_b32 s4, vcc_lo, s2
	s_mov_b32 s2, -1
	s_and_saveexec_b32 s3, s4
	s_cbranch_execz .LBB40_2
; %bb.1:
	s_wait_loadcnt_dscnt 0x0
	v_cmp_neq_f64_e32 vcc_lo, 1.0, v[6:7]
	v_cmp_neq_f64_e64 s2, 0, v[8:9]
	s_or_b32 s2, vcc_lo, s2
	s_delay_alu instid0(SALU_CYCLE_1)
	s_or_not1_b32 s2, s2, exec_lo
.LBB40_2:
	s_or_b32 exec_lo, exec_lo, s3
	s_and_saveexec_b32 s3, s2
	s_cbranch_execz .LBB40_48
; %bb.3:
	s_clause 0x1
	s_load_b128 s[8:11], s[0:1], 0x0
	s_load_b64 s[2:3], s[0:1], 0x30
	s_bfe_u32 s4, ttmp6, 0x4000c
	s_and_b32 s5, ttmp6, 15
	s_add_co_i32 s4, s4, 1
	s_getreg_b32 s12, hwreg(HW_REG_IB_STS2, 6, 4)
	s_mul_i32 s4, ttmp9, s4
	s_mov_b64 s[22:23], 0
	s_add_co_i32 s5, s5, s4
	s_cmp_eq_u32 s12, 0
	s_mov_b64 s[24:25], 0
	s_cselect_b32 s6, ttmp9, s5
	s_mov_b32 s5, 0
	s_wait_kmcnt 0x0
	s_cmp_lt_i32 s6, s10
	s_cselect_b32 s28, -1, 0
	s_cmp_ge_i32 s6, s10
	s_cbranch_scc1 .LBB40_5
; %bb.4:
	s_ashr_i32 s7, s6, 31
	s_mov_b32 s4, s21
	s_lshl_b64 s[14:15], s[6:7], 3
	s_delay_alu instid0(SALU_CYCLE_1)
	s_add_nc_u64 s[14:15], s[2:3], s[14:15]
	s_load_b64 s[14:15], s[14:15], 0x0
	s_wait_kmcnt 0x0
	s_sub_nc_u64 s[24:25], s[14:15], s[4:5]
.LBB40_5:
	s_and_not1_b32 vcc_lo, exec_lo, s28
	s_cbranch_vccnz .LBB40_7
; %bb.6:
	s_ashr_i32 s7, s6, 31
	s_delay_alu instid0(SALU_CYCLE_1) | instskip(NEXT) | instid1(SALU_CYCLE_1)
	s_lshl_b64 s[4:5], s[6:7], 3
	s_add_nc_u64 s[2:3], s[2:3], s[4:5]
	s_mov_b32 s5, 0
	s_load_b64 s[2:3], s[2:3], 0x8
	s_mov_b32 s4, s21
	s_wait_kmcnt 0x0
	s_sub_nc_u64 s[22:23], s[2:3], s[4:5]
.LBB40_7:
	s_bfe_u32 s2, ttmp6, 0x40010
	s_load_b32 s7, s[0:1], 0x48
	s_add_co_i32 s2, s2, 1
	s_bfe_u32 s3, ttmp6, 0x40004
	s_mul_i32 s2, ttmp7, s2
	v_bfe_u32 v24, v0, 10, 10
	s_add_co_i32 s3, s3, s2
	s_cmp_eq_u32 s12, 0
	v_and_b32_e32 v30, 0x3ff, v0
	s_cselect_b32 s2, ttmp7, s3
	v_cmp_ge_i64_e64 s3, s[24:25], s[22:23]
	v_lshl_add_u32 v18, s2, 4, v24
	v_mov_b64_e32 v[20:21], 0
	v_mov_b64_e32 v[12:13], 0
	;; [unrolled: 1-line block ×4, first 2 shown]
	v_add_nc_u32_e32 v0, 8, v18
	s_and_b32 vcc_lo, exec_lo, s3
	v_cmp_gt_i32_e64 s3, s11, v18
	s_mov_b32 s27, 0
	s_wait_kmcnt 0x0
	v_cmp_gt_i32_e64 s2, s7, v30
	v_cmp_gt_i32_e64 s4, s11, v0
	s_cbranch_vccnz .LBB40_25
; %bb.8:
	s_clause 0x1
	s_load_b128 s[12:15], s[0:1], 0x38
	s_load_b128 s[16:19], s[0:1], 0x50
	v_mul_lo_u32 v12, s7, v24
	v_dual_mov_b32 v13, 0 :: v_dual_ashrrev_i32 v19, 31, v18
	v_dual_ashrrev_i32 v1, 31, v0 :: v_dual_lshlrev_b32 v26, 4, v30
	v_cmp_gt_i32_e32 vcc_lo, s7, v24
	v_dual_lshlrev_b32 v20, 4, v24 :: v_dual_lshlrev_b32 v31, 7, v24
	s_delay_alu instid0(VALU_DEP_4) | instskip(SKIP_2) | instid1(VALU_DEP_3)
	v_dual_mov_b32 v27, v13 :: v_dual_mov_b32 v21, v13
	v_lshl_add_u32 v32, v30, 7, 0x800
	s_and_b32 s10, s2, vcc_lo
	v_add_nc_u32_e32 v33, v31, v26
	s_bitcmp1_b32 s8, 0
	v_mov_b64_e32 v[14:15], 0
	s_cselect_b32 s5, -1, 0
	s_cmp_eq_u32 s9, 0
	v_add_nc_u32_e32 v34, v32, v20
	s_wait_kmcnt 0x0
	v_lshl_add_u64 v[16:17], v[12:13], 4, s[14:15]
	v_mul_u64_e32 v[10:11], s[18:19], v[18:19]
	v_mul_u64_e32 v[22:23], s[18:19], v[0:1]
	v_mul_lo_u32 v12, s7, v30
	s_cselect_b32 vcc_lo, -1, 0
	v_add_nc_u64_e32 v[24:25], v[16:17], v[26:27]
	v_mov_b64_e32 v[16:17], 0
	v_add_nc_u32_e32 v36, 0x400, v31
	s_mul_i32 s26, s7, s7
	s_delay_alu instid0(VALU_DEP_4) | instskip(NEXT) | instid1(VALU_DEP_1)
	v_lshl_add_u64 v[12:13], v[12:13], 4, s[14:15]
	v_add_nc_u64_e32 v[26:27], v[12:13], v[20:21]
	v_mov_b64_e32 v[12:13], 0
	v_mov_b64_e32 v[20:21], 0
	s_delay_alu instid0(VALU_DEP_3) | instskip(NEXT) | instid1(VALU_DEP_4)
	v_dual_cndmask_b32 v24, v24, v26 :: v_dual_add_nc_u32 v35, 0x400, v33
	v_cndmask_b32_e32 v25, v25, v27, vcc_lo
	s_branch .LBB40_11
.LBB40_9:                               ;   in Loop: Header=BB40_11 Depth=1
	s_or_b32 exec_lo, exec_lo, s9
.LBB40_10:                              ;   in Loop: Header=BB40_11 Depth=1
	s_delay_alu instid0(SALU_CYCLE_1) | instskip(SKIP_1) | instid1(SALU_CYCLE_1)
	s_or_b32 exec_lo, exec_lo, s8
	s_add_nc_u64 s[24:25], s[24:25], 1
	v_cmp_ge_i64_e64 s8, s[24:25], s[22:23]
	s_barrier_signal -1
	s_barrier_wait -1
	s_and_b32 vcc_lo, exec_lo, s8
	s_cbranch_vccnz .LBB40_25
.LBB40_11:                              ; =>This Loop Header: Depth=1
                                        ;     Child Loop BB40_21 Depth 2
                                        ;     Child Loop BB40_24 Depth 2
	s_and_saveexec_b32 s8, s2
	s_cbranch_execz .LBB40_16
; %bb.12:                               ;   in Loop: Header=BB40_11 Depth=1
	s_lshl_b64 s[14:15], s[24:25], 2
	s_delay_alu instid0(SALU_CYCLE_1) | instskip(SKIP_3) | instid1(SALU_CYCLE_1)
	s_add_nc_u64 s[14:15], s[12:13], s[14:15]
	s_load_b32 s9, s[14:15], 0x0
	s_wait_kmcnt 0x0
	s_sub_co_i32 s9, s9, s21
	v_mad_u32 v28, s9, s7, v30
	s_delay_alu instid0(VALU_DEP_1) | instskip(NEXT) | instid1(VALU_DEP_1)
	v_ashrrev_i32_e32 v29, 31, v28
	v_mul_u64_e32 v[26:27], s[18:19], v[28:29]
	v_lshl_add_u64 v[28:29], v[28:29], 4, s[16:17]
	s_delay_alu instid0(VALU_DEP_2)
	v_lshl_add_u64 v[26:27], v[26:27], 4, s[16:17]
	s_and_saveexec_b32 s9, s3
	s_cbranch_execz .LBB40_14
; %bb.13:                               ;   in Loop: Header=BB40_11 Depth=1
	s_delay_alu instid0(VALU_DEP_2) | instskip(NEXT) | instid1(VALU_DEP_2)
	v_lshl_add_u64 v[38:39], v[10:11], 4, v[28:29]
	v_lshl_add_u64 v[40:41], v[18:19], 4, v[26:27]
	s_delay_alu instid0(VALU_DEP_1)
	v_dual_cndmask_b32 v39, v41, v39, s5 :: v_dual_cndmask_b32 v38, v40, v38, s5
	global_load_b128 v[38:41], v[38:39], off
	s_wait_loadcnt 0x0
	ds_store_2addr_b64 v33, v[38:39], v[40:41] offset1:1
.LBB40_14:                              ;   in Loop: Header=BB40_11 Depth=1
	s_or_b32 exec_lo, exec_lo, s9
	s_delay_alu instid0(SALU_CYCLE_1)
	s_and_b32 exec_lo, exec_lo, s4
	s_cbranch_execz .LBB40_16
; %bb.15:                               ;   in Loop: Header=BB40_11 Depth=1
	v_lshl_add_u64 v[28:29], v[22:23], 4, v[28:29]
	v_lshl_add_u64 v[26:27], v[0:1], 4, v[26:27]
	s_delay_alu instid0(VALU_DEP_1)
	v_dual_cndmask_b32 v27, v27, v29, s5 :: v_dual_cndmask_b32 v26, v26, v28, s5
	global_load_b128 v[26:29], v[26:27], off
	s_wait_loadcnt 0x0
	ds_store_2addr_b64 v35, v[26:27], v[28:29] offset1:1
.LBB40_16:                              ;   in Loop: Header=BB40_11 Depth=1
	s_or_b32 exec_lo, exec_lo, s8
	s_and_saveexec_b32 s8, s10
	s_cbranch_execz .LBB40_18
; %bb.17:                               ;   in Loop: Header=BB40_11 Depth=1
	s_mul_u64 s[14:15], s[24:25], s[26:27]
	s_delay_alu instid0(SALU_CYCLE_1)
	v_lshl_add_u64 v[26:27], s[14:15], 4, v[24:25]
	global_load_b128 v[26:29], v[26:27], off
	s_wait_loadcnt 0x0
	ds_store_2addr_b64 v34, v[26:27], v[28:29] offset1:1
.LBB40_18:                              ;   in Loop: Header=BB40_11 Depth=1
	s_or_b32 exec_lo, exec_lo, s8
	s_wait_loadcnt_dscnt 0x0
	s_barrier_signal -1
	s_barrier_wait -1
	s_and_saveexec_b32 s8, s2
	s_cbranch_execz .LBB40_10
; %bb.19:                               ;   in Loop: Header=BB40_11 Depth=1
	s_and_saveexec_b32 s9, s3
	s_cbranch_execz .LBB40_22
; %bb.20:                               ;   in Loop: Header=BB40_11 Depth=1
	v_dual_mov_b32 v26, v32 :: v_dual_mov_b32 v27, v31
	s_mov_b32 s14, s7
.LBB40_21:                              ;   Parent Loop BB40_11 Depth=1
                                        ; =>  This Inner Loop Header: Depth=2
	ds_load_b128 v[38:41], v26
	ds_load_b128 v[42:45], v27
	v_add_nc_u32_e32 v26, 16, v26
	s_add_co_i32 s14, s14, -1
	v_add_nc_u32_e32 v27, 16, v27
	s_cmp_lg_u32 s14, 0
	s_wait_dscnt 0x0
	v_fmac_f64_e32 v[20:21], v[38:39], v[42:43]
	v_fmac_f64_e32 v[12:13], v[40:41], v[42:43]
	s_delay_alu instid0(VALU_DEP_2) | instskip(NEXT) | instid1(VALU_DEP_2)
	v_fma_f64 v[20:21], -v[40:41], v[44:45], v[20:21]
	v_fmac_f64_e32 v[12:13], v[38:39], v[44:45]
	s_cbranch_scc1 .LBB40_21
.LBB40_22:                              ;   in Loop: Header=BB40_11 Depth=1
	s_or_b32 exec_lo, exec_lo, s9
	s_and_saveexec_b32 s9, s4
	s_cbranch_execz .LBB40_9
; %bb.23:                               ;   in Loop: Header=BB40_11 Depth=1
	v_dual_mov_b32 v26, v32 :: v_dual_mov_b32 v27, v36
	s_mov_b32 s14, s7
.LBB40_24:                              ;   Parent Loop BB40_11 Depth=1
                                        ; =>  This Inner Loop Header: Depth=2
	ds_load_b128 v[38:41], v26
	ds_load_b128 v[42:45], v27
	v_add_nc_u32_e32 v26, 16, v26
	s_add_co_i32 s14, s14, -1
	v_add_nc_u32_e32 v27, 16, v27
	s_cmp_lg_u32 s14, 0
	s_wait_dscnt 0x0
	v_fmac_f64_e32 v[16:17], v[38:39], v[42:43]
	v_fmac_f64_e32 v[14:15], v[40:41], v[42:43]
	s_delay_alu instid0(VALU_DEP_2) | instskip(NEXT) | instid1(VALU_DEP_2)
	v_fma_f64 v[16:17], -v[40:41], v[44:45], v[16:17]
	v_fmac_f64_e32 v[14:15], v[38:39], v[44:45]
	s_cbranch_scc1 .LBB40_24
	s_branch .LBB40_9
.LBB40_25:
	s_load_b64 s[4:5], s[0:1], 0x78
	s_and_b32 s2, s28, s2
	s_delay_alu instid0(SALU_CYCLE_1)
	s_and_b32 exec_lo, exec_lo, s2
	s_cbranch_execz .LBB40_48
; %bb.26:
	s_load_b64 s[2:3], s[0:1], 0x80
	v_mad_u32 v10, s7, s6, v30
	s_wait_loadcnt_dscnt 0x0
	v_cmp_neq_f64_e32 vcc_lo, 0, v[6:7]
	s_wait_xcnt 0x0
	v_cmp_neq_f64_e64 s0, 0, v[8:9]
	s_delay_alu instid0(VALU_DEP_3) | instskip(SKIP_1) | instid1(VALU_DEP_1)
	v_ashrrev_i32_e32 v11, 31, v10
	s_wait_kmcnt 0x0
	v_lshl_add_u64 v[22:23], v[10:11], 4, s[4:5]
	v_mul_u64_e32 v[24:25], s[2:3], v[10:11]
	s_or_b32 s0, vcc_lo, s0
	s_cmp_lg_u32 s20, 1
	s_cselect_b32 s1, -1, 0
	s_delay_alu instid0(VALU_DEP_1)
	v_lshl_add_u64 v[24:25], v[24:25], 4, s[4:5]
	s_mov_b32 s4, exec_lo
	v_cmpx_gt_i32_e64 s11, v18
	s_cbranch_execz .LBB40_37
; %bb.27:
	v_ashrrev_i32_e32 v19, 31, v18
	s_and_saveexec_b32 s5, s0
	s_delay_alu instid0(SALU_CYCLE_1)
	s_xor_b32 s5, exec_lo, s5
	s_cbranch_execz .LBB40_32
; %bb.28:
	s_and_b32 vcc_lo, exec_lo, s1
	s_mov_b32 s6, -1
	s_cbranch_vccz .LBB40_30
; %bb.29:
	v_lshl_add_u64 v[10:11], v[18:19], 4, v[24:25]
	v_mul_f64_e64 v[30:31], v[12:13], -v[4:5]
	v_mul_f64_e32 v[32:33], v[2:3], v[12:13]
	s_mov_b32 s6, 0
	global_load_b128 v[26:29], v[10:11], off
	v_fmac_f64_e32 v[30:31], v[2:3], v[20:21]
	v_fmac_f64_e32 v[32:33], v[4:5], v[20:21]
	s_wait_loadcnt 0x0
	s_delay_alu instid0(VALU_DEP_2) | instskip(NEXT) | instid1(VALU_DEP_2)
	v_fmac_f64_e32 v[30:31], v[6:7], v[26:27]
	v_fmac_f64_e32 v[32:33], v[8:9], v[26:27]
	s_delay_alu instid0(VALU_DEP_2) | instskip(NEXT) | instid1(VALU_DEP_2)
	v_fma_f64 v[30:31], -v[8:9], v[28:29], v[30:31]
	v_fmac_f64_e32 v[32:33], v[6:7], v[28:29]
	global_store_b128 v[10:11], v[30:33], off
.LBB40_30:
	s_and_not1_b32 vcc_lo, exec_lo, s6
	s_cbranch_vccnz .LBB40_32
; %bb.31:
	s_wait_xcnt 0x0
	v_mul_u64_e32 v[10:11], s[2:3], v[18:19]
	s_delay_alu instid0(VALU_DEP_1)
	v_lshl_add_u64 v[18:19], v[10:11], 4, v[22:23]
	v_mul_f64_e64 v[10:11], v[12:13], -v[4:5]
	v_mul_f64_e32 v[12:13], v[2:3], v[12:13]
	global_load_b128 v[26:29], v[18:19], off
	v_fmac_f64_e32 v[10:11], v[2:3], v[20:21]
	v_fmac_f64_e32 v[12:13], v[4:5], v[20:21]
                                        ; implicit-def: $vgpr20_vgpr21
	s_wait_loadcnt 0x0
	s_delay_alu instid0(VALU_DEP_2) | instskip(NEXT) | instid1(VALU_DEP_2)
	v_fmac_f64_e32 v[10:11], v[6:7], v[26:27]
	v_fmac_f64_e32 v[12:13], v[8:9], v[26:27]
	s_delay_alu instid0(VALU_DEP_2) | instskip(NEXT) | instid1(VALU_DEP_2)
	v_fma_f64 v[10:11], -v[8:9], v[28:29], v[10:11]
	v_fmac_f64_e32 v[12:13], v[6:7], v[28:29]
	global_store_b128 v[18:19], v[10:13], off
                                        ; implicit-def: $vgpr12_vgpr13
                                        ; implicit-def: $vgpr18
.LBB40_32:
	s_wait_xcnt 0x0
	s_and_not1_saveexec_b32 s5, s5
	s_cbranch_execz .LBB40_37
; %bb.33:
	v_mul_f64_e64 v[10:11], v[12:13], -v[4:5]
	v_mul_f64_e32 v[12:13], v[2:3], v[12:13]
	s_and_b32 vcc_lo, exec_lo, s1
	s_mov_b32 s5, -1
	s_delay_alu instid0(VALU_DEP_2) | instskip(NEXT) | instid1(VALU_DEP_2)
	v_fmac_f64_e32 v[10:11], v[2:3], v[20:21]
	v_fmac_f64_e32 v[12:13], v[4:5], v[20:21]
	s_cbranch_vccz .LBB40_35
; %bb.34:
	v_lshl_add_u64 v[20:21], v[18:19], 4, v[24:25]
	s_mov_b32 s5, 0
	global_store_b128 v[20:21], v[10:13], off
.LBB40_35:
	s_and_not1_b32 vcc_lo, exec_lo, s5
	s_cbranch_vccnz .LBB40_37
; %bb.36:
	v_mul_u64_e32 v[18:19], s[2:3], v[18:19]
	s_delay_alu instid0(VALU_DEP_1)
	v_lshl_add_u64 v[18:19], v[18:19], 4, v[22:23]
	global_store_b128 v[18:19], v[10:13], off
.LBB40_37:
	s_wait_xcnt 0x0
	s_or_b32 exec_lo, exec_lo, s4
	v_cmp_gt_i32_e32 vcc_lo, s11, v0
	s_and_b32 exec_lo, exec_lo, vcc_lo
	s_cbranch_execz .LBB40_48
; %bb.38:
	v_ashrrev_i32_e32 v1, 31, v0
	v_cndmask_b32_e64 v10, 0, 1, s1
	s_and_saveexec_b32 s1, s0
	s_delay_alu instid0(SALU_CYCLE_1)
	s_xor_b32 s0, exec_lo, s1
	s_cbranch_execz .LBB40_43
; %bb.39:
	s_delay_alu instid0(VALU_DEP_1)
	v_cmp_ne_u32_e32 vcc_lo, 1, v10
	s_mov_b32 s1, -1
	s_cbranch_vccnz .LBB40_41
; %bb.40:
	v_lshl_add_u64 v[24:25], v[0:1], 4, v[24:25]
	v_mul_f64_e64 v[18:19], v[14:15], -v[4:5]
	v_mul_f64_e32 v[20:21], v[2:3], v[14:15]
	s_mov_b32 s1, 0
	global_load_b128 v[10:13], v[24:25], off
	v_fmac_f64_e32 v[18:19], v[2:3], v[16:17]
	v_fmac_f64_e32 v[20:21], v[4:5], v[16:17]
	s_wait_loadcnt 0x0
	s_delay_alu instid0(VALU_DEP_2) | instskip(NEXT) | instid1(VALU_DEP_2)
	v_fmac_f64_e32 v[18:19], v[6:7], v[10:11]
	v_fmac_f64_e32 v[20:21], v[8:9], v[10:11]
	s_delay_alu instid0(VALU_DEP_2) | instskip(NEXT) | instid1(VALU_DEP_2)
	v_fma_f64 v[18:19], -v[8:9], v[12:13], v[18:19]
	v_fmac_f64_e32 v[20:21], v[6:7], v[12:13]
	global_store_b128 v[24:25], v[18:21], off
.LBB40_41:
	s_and_not1_b32 vcc_lo, exec_lo, s1
                                        ; implicit-def: $vgpr24_vgpr25
                                        ; implicit-def: $vgpr10
	s_cbranch_vccnz .LBB40_43
; %bb.42:
	v_mul_u64_e32 v[0:1], s[2:3], v[0:1]
	s_wait_xcnt 0x0
	v_mul_f64_e64 v[20:21], v[14:15], -v[4:5]
	v_mul_f64_e32 v[18:19], v[2:3], v[14:15]
                                        ; implicit-def: $vgpr24_vgpr25
                                        ; implicit-def: $vgpr14_vgpr15
	s_delay_alu instid0(VALU_DEP_3) | instskip(NEXT) | instid1(VALU_DEP_3)
	v_lshl_add_u64 v[0:1], v[0:1], 4, v[22:23]
	v_fmac_f64_e32 v[20:21], v[2:3], v[16:17]
	s_delay_alu instid0(VALU_DEP_3) | instskip(SKIP_4) | instid1(VALU_DEP_2)
	v_fmac_f64_e32 v[18:19], v[4:5], v[16:17]
                                        ; implicit-def: $vgpr22_vgpr23
                                        ; implicit-def: $vgpr4_vgpr5
	global_load_b128 v[10:13], v[0:1], off
	s_wait_loadcnt 0x0
	v_fmac_f64_e32 v[20:21], v[6:7], v[10:11]
	v_fmac_f64_e32 v[18:19], v[8:9], v[10:11]
                                        ; implicit-def: $vgpr10
	v_fma_f64 v[16:17], -v[8:9], v[12:13], v[20:21]
	s_delay_alu instid0(VALU_DEP_2)
	v_fmac_f64_e32 v[18:19], v[6:7], v[12:13]
	global_store_b128 v[0:1], v[16:19], off
                                        ; implicit-def: $vgpr0
                                        ; implicit-def: $vgpr16_vgpr17
.LBB40_43:
	s_wait_xcnt 0x0
	s_and_not1_saveexec_b32 s0, s0
	s_cbranch_execz .LBB40_48
; %bb.44:
	v_mul_f64_e64 v[6:7], v[14:15], -v[4:5]
	v_mul_f64_e32 v[8:9], v[2:3], v[14:15]
	v_cmp_ne_u32_e32 vcc_lo, 1, v10
	s_mov_b32 s0, -1
	s_delay_alu instid0(VALU_DEP_3) | instskip(NEXT) | instid1(VALU_DEP_3)
	v_fmac_f64_e32 v[6:7], v[2:3], v[16:17]
	v_fmac_f64_e32 v[8:9], v[4:5], v[16:17]
	s_cbranch_vccnz .LBB40_46
; %bb.45:
	v_lshl_add_u64 v[2:3], v[0:1], 4, v[24:25]
	s_mov_b32 s0, 0
	global_store_b128 v[2:3], v[6:9], off
.LBB40_46:
	s_and_not1_b32 vcc_lo, exec_lo, s0
	s_cbranch_vccnz .LBB40_48
; %bb.47:
	v_mul_u64_e32 v[0:1], s[2:3], v[0:1]
	s_delay_alu instid0(VALU_DEP_1)
	v_lshl_add_u64 v[0:1], v[0:1], 4, v[22:23]
	global_store_b128 v[0:1], v[6:9], off
.LBB40_48:
	s_endpgm
	.section	.rodata,"a",@progbits
	.p2align	6, 0x0
	.amdhsa_kernel _ZN9rocsparseL31bsrmm_large_blockdim_kernel_extILj8ELj8ELj2Eli21rocsparse_complex_numIdES2_S2_S2_EEvb20rocsparse_direction_T3_S4_llNS_24const_host_device_scalarIT7_EEPKT2_PKS4_PKT4_S4_PKT5_llS7_PT6_ll16rocsparse_order_21rocsparse_index_base_b
		.amdhsa_group_segment_fixed_size 3072
		.amdhsa_private_segment_fixed_size 0
		.amdhsa_kernarg_size 156
		.amdhsa_user_sgpr_count 2
		.amdhsa_user_sgpr_dispatch_ptr 0
		.amdhsa_user_sgpr_queue_ptr 0
		.amdhsa_user_sgpr_kernarg_segment_ptr 1
		.amdhsa_user_sgpr_dispatch_id 0
		.amdhsa_user_sgpr_kernarg_preload_length 0
		.amdhsa_user_sgpr_kernarg_preload_offset 0
		.amdhsa_user_sgpr_private_segment_size 0
		.amdhsa_wavefront_size32 1
		.amdhsa_uses_dynamic_stack 0
		.amdhsa_enable_private_segment 0
		.amdhsa_system_sgpr_workgroup_id_x 1
		.amdhsa_system_sgpr_workgroup_id_y 1
		.amdhsa_system_sgpr_workgroup_id_z 0
		.amdhsa_system_sgpr_workgroup_info 0
		.amdhsa_system_vgpr_workitem_id 1
		.amdhsa_next_free_vgpr 46
		.amdhsa_next_free_sgpr 29
		.amdhsa_named_barrier_count 0
		.amdhsa_reserve_vcc 1
		.amdhsa_float_round_mode_32 0
		.amdhsa_float_round_mode_16_64 0
		.amdhsa_float_denorm_mode_32 3
		.amdhsa_float_denorm_mode_16_64 3
		.amdhsa_fp16_overflow 0
		.amdhsa_memory_ordered 1
		.amdhsa_forward_progress 1
		.amdhsa_inst_pref_size 16
		.amdhsa_round_robin_scheduling 0
		.amdhsa_exception_fp_ieee_invalid_op 0
		.amdhsa_exception_fp_denorm_src 0
		.amdhsa_exception_fp_ieee_div_zero 0
		.amdhsa_exception_fp_ieee_overflow 0
		.amdhsa_exception_fp_ieee_underflow 0
		.amdhsa_exception_fp_ieee_inexact 0
		.amdhsa_exception_int_div_zero 0
	.end_amdhsa_kernel
	.section	.text._ZN9rocsparseL31bsrmm_large_blockdim_kernel_extILj8ELj8ELj2Eli21rocsparse_complex_numIdES2_S2_S2_EEvb20rocsparse_direction_T3_S4_llNS_24const_host_device_scalarIT7_EEPKT2_PKS4_PKT4_S4_PKT5_llS7_PT6_ll16rocsparse_order_21rocsparse_index_base_b,"axG",@progbits,_ZN9rocsparseL31bsrmm_large_blockdim_kernel_extILj8ELj8ELj2Eli21rocsparse_complex_numIdES2_S2_S2_EEvb20rocsparse_direction_T3_S4_llNS_24const_host_device_scalarIT7_EEPKT2_PKS4_PKT4_S4_PKT5_llS7_PT6_ll16rocsparse_order_21rocsparse_index_base_b,comdat
.Lfunc_end40:
	.size	_ZN9rocsparseL31bsrmm_large_blockdim_kernel_extILj8ELj8ELj2Eli21rocsparse_complex_numIdES2_S2_S2_EEvb20rocsparse_direction_T3_S4_llNS_24const_host_device_scalarIT7_EEPKT2_PKS4_PKT4_S4_PKT5_llS7_PT6_ll16rocsparse_order_21rocsparse_index_base_b, .Lfunc_end40-_ZN9rocsparseL31bsrmm_large_blockdim_kernel_extILj8ELj8ELj2Eli21rocsparse_complex_numIdES2_S2_S2_EEvb20rocsparse_direction_T3_S4_llNS_24const_host_device_scalarIT7_EEPKT2_PKS4_PKT4_S4_PKT5_llS7_PT6_ll16rocsparse_order_21rocsparse_index_base_b
                                        ; -- End function
	.set _ZN9rocsparseL31bsrmm_large_blockdim_kernel_extILj8ELj8ELj2Eli21rocsparse_complex_numIdES2_S2_S2_EEvb20rocsparse_direction_T3_S4_llNS_24const_host_device_scalarIT7_EEPKT2_PKS4_PKT4_S4_PKT5_llS7_PT6_ll16rocsparse_order_21rocsparse_index_base_b.num_vgpr, 46
	.set _ZN9rocsparseL31bsrmm_large_blockdim_kernel_extILj8ELj8ELj2Eli21rocsparse_complex_numIdES2_S2_S2_EEvb20rocsparse_direction_T3_S4_llNS_24const_host_device_scalarIT7_EEPKT2_PKS4_PKT4_S4_PKT5_llS7_PT6_ll16rocsparse_order_21rocsparse_index_base_b.num_agpr, 0
	.set _ZN9rocsparseL31bsrmm_large_blockdim_kernel_extILj8ELj8ELj2Eli21rocsparse_complex_numIdES2_S2_S2_EEvb20rocsparse_direction_T3_S4_llNS_24const_host_device_scalarIT7_EEPKT2_PKS4_PKT4_S4_PKT5_llS7_PT6_ll16rocsparse_order_21rocsparse_index_base_b.numbered_sgpr, 29
	.set _ZN9rocsparseL31bsrmm_large_blockdim_kernel_extILj8ELj8ELj2Eli21rocsparse_complex_numIdES2_S2_S2_EEvb20rocsparse_direction_T3_S4_llNS_24const_host_device_scalarIT7_EEPKT2_PKS4_PKT4_S4_PKT5_llS7_PT6_ll16rocsparse_order_21rocsparse_index_base_b.num_named_barrier, 0
	.set _ZN9rocsparseL31bsrmm_large_blockdim_kernel_extILj8ELj8ELj2Eli21rocsparse_complex_numIdES2_S2_S2_EEvb20rocsparse_direction_T3_S4_llNS_24const_host_device_scalarIT7_EEPKT2_PKS4_PKT4_S4_PKT5_llS7_PT6_ll16rocsparse_order_21rocsparse_index_base_b.private_seg_size, 0
	.set _ZN9rocsparseL31bsrmm_large_blockdim_kernel_extILj8ELj8ELj2Eli21rocsparse_complex_numIdES2_S2_S2_EEvb20rocsparse_direction_T3_S4_llNS_24const_host_device_scalarIT7_EEPKT2_PKS4_PKT4_S4_PKT5_llS7_PT6_ll16rocsparse_order_21rocsparse_index_base_b.uses_vcc, 1
	.set _ZN9rocsparseL31bsrmm_large_blockdim_kernel_extILj8ELj8ELj2Eli21rocsparse_complex_numIdES2_S2_S2_EEvb20rocsparse_direction_T3_S4_llNS_24const_host_device_scalarIT7_EEPKT2_PKS4_PKT4_S4_PKT5_llS7_PT6_ll16rocsparse_order_21rocsparse_index_base_b.uses_flat_scratch, 0
	.set _ZN9rocsparseL31bsrmm_large_blockdim_kernel_extILj8ELj8ELj2Eli21rocsparse_complex_numIdES2_S2_S2_EEvb20rocsparse_direction_T3_S4_llNS_24const_host_device_scalarIT7_EEPKT2_PKS4_PKT4_S4_PKT5_llS7_PT6_ll16rocsparse_order_21rocsparse_index_base_b.has_dyn_sized_stack, 0
	.set _ZN9rocsparseL31bsrmm_large_blockdim_kernel_extILj8ELj8ELj2Eli21rocsparse_complex_numIdES2_S2_S2_EEvb20rocsparse_direction_T3_S4_llNS_24const_host_device_scalarIT7_EEPKT2_PKS4_PKT4_S4_PKT5_llS7_PT6_ll16rocsparse_order_21rocsparse_index_base_b.has_recursion, 0
	.set _ZN9rocsparseL31bsrmm_large_blockdim_kernel_extILj8ELj8ELj2Eli21rocsparse_complex_numIdES2_S2_S2_EEvb20rocsparse_direction_T3_S4_llNS_24const_host_device_scalarIT7_EEPKT2_PKS4_PKT4_S4_PKT5_llS7_PT6_ll16rocsparse_order_21rocsparse_index_base_b.has_indirect_call, 0
	.section	.AMDGPU.csdata,"",@progbits
; Kernel info:
; codeLenInByte = 2040
; TotalNumSgprs: 31
; NumVgprs: 46
; ScratchSize: 0
; MemoryBound: 0
; FloatMode: 240
; IeeeMode: 1
; LDSByteSize: 3072 bytes/workgroup (compile time only)
; SGPRBlocks: 0
; VGPRBlocks: 2
; NumSGPRsForWavesPerEU: 31
; NumVGPRsForWavesPerEU: 46
; NamedBarCnt: 0
; Occupancy: 16
; WaveLimiterHint : 0
; COMPUTE_PGM_RSRC2:SCRATCH_EN: 0
; COMPUTE_PGM_RSRC2:USER_SGPR: 2
; COMPUTE_PGM_RSRC2:TRAP_HANDLER: 0
; COMPUTE_PGM_RSRC2:TGID_X_EN: 1
; COMPUTE_PGM_RSRC2:TGID_Y_EN: 1
; COMPUTE_PGM_RSRC2:TGID_Z_EN: 0
; COMPUTE_PGM_RSRC2:TIDIG_COMP_CNT: 1
	.section	.text._ZN9rocsparseL31bsrmm_large_blockdim_kernel_extILj4ELj16ELj2Eli21rocsparse_complex_numIdES2_S2_S2_EEvb20rocsparse_direction_T3_S4_llNS_24const_host_device_scalarIT7_EEPKT2_PKS4_PKT4_S4_PKT5_llS7_PT6_ll16rocsparse_order_21rocsparse_index_base_b,"axG",@progbits,_ZN9rocsparseL31bsrmm_large_blockdim_kernel_extILj4ELj16ELj2Eli21rocsparse_complex_numIdES2_S2_S2_EEvb20rocsparse_direction_T3_S4_llNS_24const_host_device_scalarIT7_EEPKT2_PKS4_PKT4_S4_PKT5_llS7_PT6_ll16rocsparse_order_21rocsparse_index_base_b,comdat
	.globl	_ZN9rocsparseL31bsrmm_large_blockdim_kernel_extILj4ELj16ELj2Eli21rocsparse_complex_numIdES2_S2_S2_EEvb20rocsparse_direction_T3_S4_llNS_24const_host_device_scalarIT7_EEPKT2_PKS4_PKT4_S4_PKT5_llS7_PT6_ll16rocsparse_order_21rocsparse_index_base_b ; -- Begin function _ZN9rocsparseL31bsrmm_large_blockdim_kernel_extILj4ELj16ELj2Eli21rocsparse_complex_numIdES2_S2_S2_EEvb20rocsparse_direction_T3_S4_llNS_24const_host_device_scalarIT7_EEPKT2_PKS4_PKT4_S4_PKT5_llS7_PT6_ll16rocsparse_order_21rocsparse_index_base_b
	.p2align	8
	.type	_ZN9rocsparseL31bsrmm_large_blockdim_kernel_extILj4ELj16ELj2Eli21rocsparse_complex_numIdES2_S2_S2_EEvb20rocsparse_direction_T3_S4_llNS_24const_host_device_scalarIT7_EEPKT2_PKS4_PKT4_S4_PKT5_llS7_PT6_ll16rocsparse_order_21rocsparse_index_base_b,@function
_ZN9rocsparseL31bsrmm_large_blockdim_kernel_extILj4ELj16ELj2Eli21rocsparse_complex_numIdES2_S2_S2_EEvb20rocsparse_direction_T3_S4_llNS_24const_host_device_scalarIT7_EEPKT2_PKS4_PKT4_S4_PKT5_llS7_PT6_ll16rocsparse_order_21rocsparse_index_base_b: ; @_ZN9rocsparseL31bsrmm_large_blockdim_kernel_extILj4ELj16ELj2Eli21rocsparse_complex_numIdES2_S2_S2_EEvb20rocsparse_direction_T3_S4_llNS_24const_host_device_scalarIT7_EEPKT2_PKS4_PKT4_S4_PKT5_llS7_PT6_ll16rocsparse_order_21rocsparse_index_base_b
; %bb.0:
	s_clause 0x1
	s_load_b96 s[20:22], s[0:1], 0x90
	s_load_b64 s[2:3], s[0:1], 0x20
	v_mov_b32_e32 v1, 0
	s_add_nc_u64 s[4:5], s[0:1], 32
	s_load_b64 s[6:7], s[0:1], 0x68
	s_wait_kmcnt 0x0
	s_bitcmp1_b32 s22, 0
	s_cselect_b32 s3, s5, s3
	s_cselect_b32 s2, s4, s2
	flat_load_b128 v[2:5], v1, s[2:3]
	s_wait_xcnt 0x0
	s_add_nc_u64 s[2:3], s[0:1], 0x68
	s_delay_alu instid0(SALU_CYCLE_1)
	s_cselect_b32 s3, s3, s7
	s_cselect_b32 s2, s2, s6
	flat_load_b128 v[6:9], v1, s[2:3]
	s_wait_loadcnt_dscnt 0x101
	v_cmp_eq_f64_e32 vcc_lo, 0, v[2:3]
	s_wait_xcnt 0x0
	v_cmp_eq_f64_e64 s2, 0, v[4:5]
	s_and_b32 s4, vcc_lo, s2
	s_mov_b32 s2, -1
	s_and_saveexec_b32 s3, s4
	s_cbranch_execz .LBB41_2
; %bb.1:
	s_wait_loadcnt_dscnt 0x0
	v_cmp_neq_f64_e32 vcc_lo, 1.0, v[6:7]
	v_cmp_neq_f64_e64 s2, 0, v[8:9]
	s_or_b32 s2, vcc_lo, s2
	s_delay_alu instid0(SALU_CYCLE_1)
	s_or_not1_b32 s2, s2, exec_lo
.LBB41_2:
	s_or_b32 exec_lo, exec_lo, s3
	s_and_saveexec_b32 s3, s2
	s_cbranch_execz .LBB41_48
; %bb.3:
	s_clause 0x1
	s_load_b128 s[8:11], s[0:1], 0x0
	s_load_b64 s[2:3], s[0:1], 0x30
	s_bfe_u32 s4, ttmp6, 0x4000c
	s_and_b32 s5, ttmp6, 15
	s_add_co_i32 s4, s4, 1
	s_getreg_b32 s12, hwreg(HW_REG_IB_STS2, 6, 4)
	s_mul_i32 s4, ttmp9, s4
	s_mov_b64 s[22:23], 0
	s_add_co_i32 s5, s5, s4
	s_cmp_eq_u32 s12, 0
	s_mov_b64 s[24:25], 0
	s_cselect_b32 s6, ttmp9, s5
	s_mov_b32 s5, 0
	s_wait_kmcnt 0x0
	s_cmp_lt_i32 s6, s10
	s_cselect_b32 s28, -1, 0
	s_cmp_ge_i32 s6, s10
	s_cbranch_scc1 .LBB41_5
; %bb.4:
	s_ashr_i32 s7, s6, 31
	s_mov_b32 s4, s21
	s_lshl_b64 s[14:15], s[6:7], 3
	s_delay_alu instid0(SALU_CYCLE_1)
	s_add_nc_u64 s[14:15], s[2:3], s[14:15]
	s_load_b64 s[14:15], s[14:15], 0x0
	s_wait_kmcnt 0x0
	s_sub_nc_u64 s[24:25], s[14:15], s[4:5]
.LBB41_5:
	s_and_not1_b32 vcc_lo, exec_lo, s28
	s_cbranch_vccnz .LBB41_7
; %bb.6:
	s_ashr_i32 s7, s6, 31
	s_delay_alu instid0(SALU_CYCLE_1) | instskip(NEXT) | instid1(SALU_CYCLE_1)
	s_lshl_b64 s[4:5], s[6:7], 3
	s_add_nc_u64 s[2:3], s[2:3], s[4:5]
	s_mov_b32 s5, 0
	s_load_b64 s[2:3], s[2:3], 0x8
	s_mov_b32 s4, s21
	s_wait_kmcnt 0x0
	s_sub_nc_u64 s[22:23], s[2:3], s[4:5]
.LBB41_7:
	s_bfe_u32 s2, ttmp6, 0x40010
	s_load_b32 s7, s[0:1], 0x48
	s_add_co_i32 s2, s2, 1
	s_bfe_u32 s3, ttmp6, 0x40004
	s_mul_i32 s2, ttmp7, s2
	v_bfe_u32 v24, v0, 10, 10
	s_add_co_i32 s3, s3, s2
	s_cmp_eq_u32 s12, 0
	v_and_b32_e32 v30, 0x3ff, v0
	s_cselect_b32 s2, ttmp7, s3
	v_cmp_ge_i64_e64 s3, s[24:25], s[22:23]
	v_lshl_add_u32 v18, s2, 5, v24
	v_mov_b64_e32 v[20:21], 0
	v_mov_b64_e32 v[12:13], 0
	;; [unrolled: 1-line block ×4, first 2 shown]
	v_add_nc_u32_e32 v0, 16, v18
	s_and_b32 vcc_lo, exec_lo, s3
	v_cmp_gt_i32_e64 s3, s11, v18
	s_mov_b32 s27, 0
	s_wait_kmcnt 0x0
	v_cmp_gt_i32_e64 s2, s7, v30
	v_cmp_gt_i32_e64 s4, s11, v0
	s_cbranch_vccnz .LBB41_25
; %bb.8:
	s_clause 0x1
	s_load_b128 s[12:15], s[0:1], 0x38
	s_load_b128 s[16:19], s[0:1], 0x50
	v_mul_lo_u32 v12, s7, v24
	v_dual_mov_b32 v13, 0 :: v_dual_ashrrev_i32 v19, 31, v18
	v_dual_ashrrev_i32 v1, 31, v0 :: v_dual_lshlrev_b32 v26, 4, v30
	v_cmp_gt_i32_e32 vcc_lo, s7, v24
	v_dual_lshlrev_b32 v20, 4, v24 :: v_dual_lshlrev_b32 v31, 6, v24
	s_delay_alu instid0(VALU_DEP_4) | instskip(SKIP_2) | instid1(VALU_DEP_3)
	v_dual_mov_b32 v27, v13 :: v_dual_mov_b32 v21, v13
	v_lshl_add_u32 v32, v30, 6, 0x800
	s_and_b32 s10, s2, vcc_lo
	v_add_nc_u32_e32 v33, v31, v26
	s_bitcmp1_b32 s8, 0
	v_mov_b64_e32 v[14:15], 0
	s_cselect_b32 s5, -1, 0
	s_cmp_eq_u32 s9, 0
	v_add_nc_u32_e32 v34, v32, v20
	s_wait_kmcnt 0x0
	v_lshl_add_u64 v[16:17], v[12:13], 4, s[14:15]
	v_mul_u64_e32 v[10:11], s[18:19], v[18:19]
	v_mul_u64_e32 v[22:23], s[18:19], v[0:1]
	v_mul_lo_u32 v12, s7, v30
	s_cselect_b32 vcc_lo, -1, 0
	v_add_nc_u64_e32 v[24:25], v[16:17], v[26:27]
	v_mov_b64_e32 v[16:17], 0
	v_add_nc_u32_e32 v36, 0x400, v31
	s_mul_i32 s26, s7, s7
	s_delay_alu instid0(VALU_DEP_4) | instskip(NEXT) | instid1(VALU_DEP_1)
	v_lshl_add_u64 v[12:13], v[12:13], 4, s[14:15]
	v_add_nc_u64_e32 v[26:27], v[12:13], v[20:21]
	v_mov_b64_e32 v[12:13], 0
	v_mov_b64_e32 v[20:21], 0
	s_delay_alu instid0(VALU_DEP_3) | instskip(NEXT) | instid1(VALU_DEP_4)
	v_dual_cndmask_b32 v24, v24, v26 :: v_dual_add_nc_u32 v35, 0x400, v33
	v_cndmask_b32_e32 v25, v25, v27, vcc_lo
	s_branch .LBB41_11
.LBB41_9:                               ;   in Loop: Header=BB41_11 Depth=1
	s_or_b32 exec_lo, exec_lo, s9
.LBB41_10:                              ;   in Loop: Header=BB41_11 Depth=1
	s_delay_alu instid0(SALU_CYCLE_1) | instskip(SKIP_1) | instid1(SALU_CYCLE_1)
	s_or_b32 exec_lo, exec_lo, s8
	s_add_nc_u64 s[24:25], s[24:25], 1
	v_cmp_ge_i64_e64 s8, s[24:25], s[22:23]
	s_barrier_signal -1
	s_barrier_wait -1
	s_and_b32 vcc_lo, exec_lo, s8
	s_cbranch_vccnz .LBB41_25
.LBB41_11:                              ; =>This Loop Header: Depth=1
                                        ;     Child Loop BB41_21 Depth 2
                                        ;     Child Loop BB41_24 Depth 2
	s_and_saveexec_b32 s8, s2
	s_cbranch_execz .LBB41_16
; %bb.12:                               ;   in Loop: Header=BB41_11 Depth=1
	s_lshl_b64 s[14:15], s[24:25], 2
	s_delay_alu instid0(SALU_CYCLE_1) | instskip(SKIP_3) | instid1(SALU_CYCLE_1)
	s_add_nc_u64 s[14:15], s[12:13], s[14:15]
	s_load_b32 s9, s[14:15], 0x0
	s_wait_kmcnt 0x0
	s_sub_co_i32 s9, s9, s21
	v_mad_u32 v28, s9, s7, v30
	s_delay_alu instid0(VALU_DEP_1) | instskip(NEXT) | instid1(VALU_DEP_1)
	v_ashrrev_i32_e32 v29, 31, v28
	v_mul_u64_e32 v[26:27], s[18:19], v[28:29]
	v_lshl_add_u64 v[28:29], v[28:29], 4, s[16:17]
	s_delay_alu instid0(VALU_DEP_2)
	v_lshl_add_u64 v[26:27], v[26:27], 4, s[16:17]
	s_and_saveexec_b32 s9, s3
	s_cbranch_execz .LBB41_14
; %bb.13:                               ;   in Loop: Header=BB41_11 Depth=1
	s_delay_alu instid0(VALU_DEP_2) | instskip(NEXT) | instid1(VALU_DEP_2)
	v_lshl_add_u64 v[38:39], v[10:11], 4, v[28:29]
	v_lshl_add_u64 v[40:41], v[18:19], 4, v[26:27]
	s_delay_alu instid0(VALU_DEP_1)
	v_dual_cndmask_b32 v39, v41, v39, s5 :: v_dual_cndmask_b32 v38, v40, v38, s5
	global_load_b128 v[38:41], v[38:39], off
	s_wait_loadcnt 0x0
	ds_store_2addr_b64 v33, v[38:39], v[40:41] offset1:1
.LBB41_14:                              ;   in Loop: Header=BB41_11 Depth=1
	s_or_b32 exec_lo, exec_lo, s9
	s_delay_alu instid0(SALU_CYCLE_1)
	s_and_b32 exec_lo, exec_lo, s4
	s_cbranch_execz .LBB41_16
; %bb.15:                               ;   in Loop: Header=BB41_11 Depth=1
	v_lshl_add_u64 v[28:29], v[22:23], 4, v[28:29]
	v_lshl_add_u64 v[26:27], v[0:1], 4, v[26:27]
	s_delay_alu instid0(VALU_DEP_1)
	v_dual_cndmask_b32 v27, v27, v29, s5 :: v_dual_cndmask_b32 v26, v26, v28, s5
	global_load_b128 v[26:29], v[26:27], off
	s_wait_loadcnt 0x0
	ds_store_2addr_b64 v35, v[26:27], v[28:29] offset1:1
.LBB41_16:                              ;   in Loop: Header=BB41_11 Depth=1
	s_or_b32 exec_lo, exec_lo, s8
	s_and_saveexec_b32 s8, s10
	s_cbranch_execz .LBB41_18
; %bb.17:                               ;   in Loop: Header=BB41_11 Depth=1
	s_mul_u64 s[14:15], s[24:25], s[26:27]
	s_delay_alu instid0(SALU_CYCLE_1)
	v_lshl_add_u64 v[26:27], s[14:15], 4, v[24:25]
	global_load_b128 v[26:29], v[26:27], off
	s_wait_loadcnt 0x0
	ds_store_2addr_b64 v34, v[26:27], v[28:29] offset1:1
.LBB41_18:                              ;   in Loop: Header=BB41_11 Depth=1
	s_or_b32 exec_lo, exec_lo, s8
	s_wait_loadcnt_dscnt 0x0
	s_barrier_signal -1
	s_barrier_wait -1
	s_and_saveexec_b32 s8, s2
	s_cbranch_execz .LBB41_10
; %bb.19:                               ;   in Loop: Header=BB41_11 Depth=1
	s_and_saveexec_b32 s9, s3
	s_cbranch_execz .LBB41_22
; %bb.20:                               ;   in Loop: Header=BB41_11 Depth=1
	v_dual_mov_b32 v26, v32 :: v_dual_mov_b32 v27, v31
	s_mov_b32 s14, s7
.LBB41_21:                              ;   Parent Loop BB41_11 Depth=1
                                        ; =>  This Inner Loop Header: Depth=2
	ds_load_b128 v[38:41], v26
	ds_load_b128 v[42:45], v27
	v_add_nc_u32_e32 v26, 16, v26
	s_add_co_i32 s14, s14, -1
	v_add_nc_u32_e32 v27, 16, v27
	s_cmp_lg_u32 s14, 0
	s_wait_dscnt 0x0
	v_fmac_f64_e32 v[20:21], v[38:39], v[42:43]
	v_fmac_f64_e32 v[12:13], v[40:41], v[42:43]
	s_delay_alu instid0(VALU_DEP_2) | instskip(NEXT) | instid1(VALU_DEP_2)
	v_fma_f64 v[20:21], -v[40:41], v[44:45], v[20:21]
	v_fmac_f64_e32 v[12:13], v[38:39], v[44:45]
	s_cbranch_scc1 .LBB41_21
.LBB41_22:                              ;   in Loop: Header=BB41_11 Depth=1
	s_or_b32 exec_lo, exec_lo, s9
	s_and_saveexec_b32 s9, s4
	s_cbranch_execz .LBB41_9
; %bb.23:                               ;   in Loop: Header=BB41_11 Depth=1
	v_dual_mov_b32 v26, v32 :: v_dual_mov_b32 v27, v36
	s_mov_b32 s14, s7
.LBB41_24:                              ;   Parent Loop BB41_11 Depth=1
                                        ; =>  This Inner Loop Header: Depth=2
	ds_load_b128 v[38:41], v26
	ds_load_b128 v[42:45], v27
	v_add_nc_u32_e32 v26, 16, v26
	s_add_co_i32 s14, s14, -1
	v_add_nc_u32_e32 v27, 16, v27
	s_cmp_lg_u32 s14, 0
	s_wait_dscnt 0x0
	v_fmac_f64_e32 v[16:17], v[38:39], v[42:43]
	v_fmac_f64_e32 v[14:15], v[40:41], v[42:43]
	s_delay_alu instid0(VALU_DEP_2) | instskip(NEXT) | instid1(VALU_DEP_2)
	v_fma_f64 v[16:17], -v[40:41], v[44:45], v[16:17]
	v_fmac_f64_e32 v[14:15], v[38:39], v[44:45]
	s_cbranch_scc1 .LBB41_24
	s_branch .LBB41_9
.LBB41_25:
	s_load_b64 s[4:5], s[0:1], 0x78
	s_and_b32 s2, s28, s2
	s_delay_alu instid0(SALU_CYCLE_1)
	s_and_b32 exec_lo, exec_lo, s2
	s_cbranch_execz .LBB41_48
; %bb.26:
	s_load_b64 s[2:3], s[0:1], 0x80
	v_mad_u32 v10, s7, s6, v30
	s_wait_loadcnt_dscnt 0x0
	v_cmp_neq_f64_e32 vcc_lo, 0, v[6:7]
	s_wait_xcnt 0x0
	v_cmp_neq_f64_e64 s0, 0, v[8:9]
	s_delay_alu instid0(VALU_DEP_3) | instskip(SKIP_1) | instid1(VALU_DEP_1)
	v_ashrrev_i32_e32 v11, 31, v10
	s_wait_kmcnt 0x0
	v_lshl_add_u64 v[22:23], v[10:11], 4, s[4:5]
	v_mul_u64_e32 v[24:25], s[2:3], v[10:11]
	s_or_b32 s0, vcc_lo, s0
	s_cmp_lg_u32 s20, 1
	s_cselect_b32 s1, -1, 0
	s_delay_alu instid0(VALU_DEP_1)
	v_lshl_add_u64 v[24:25], v[24:25], 4, s[4:5]
	s_mov_b32 s4, exec_lo
	v_cmpx_gt_i32_e64 s11, v18
	s_cbranch_execz .LBB41_37
; %bb.27:
	v_ashrrev_i32_e32 v19, 31, v18
	s_and_saveexec_b32 s5, s0
	s_delay_alu instid0(SALU_CYCLE_1)
	s_xor_b32 s5, exec_lo, s5
	s_cbranch_execz .LBB41_32
; %bb.28:
	s_and_b32 vcc_lo, exec_lo, s1
	s_mov_b32 s6, -1
	s_cbranch_vccz .LBB41_30
; %bb.29:
	v_lshl_add_u64 v[10:11], v[18:19], 4, v[24:25]
	v_mul_f64_e64 v[30:31], v[12:13], -v[4:5]
	v_mul_f64_e32 v[32:33], v[2:3], v[12:13]
	s_mov_b32 s6, 0
	global_load_b128 v[26:29], v[10:11], off
	v_fmac_f64_e32 v[30:31], v[2:3], v[20:21]
	v_fmac_f64_e32 v[32:33], v[4:5], v[20:21]
	s_wait_loadcnt 0x0
	s_delay_alu instid0(VALU_DEP_2) | instskip(NEXT) | instid1(VALU_DEP_2)
	v_fmac_f64_e32 v[30:31], v[6:7], v[26:27]
	v_fmac_f64_e32 v[32:33], v[8:9], v[26:27]
	s_delay_alu instid0(VALU_DEP_2) | instskip(NEXT) | instid1(VALU_DEP_2)
	v_fma_f64 v[30:31], -v[8:9], v[28:29], v[30:31]
	v_fmac_f64_e32 v[32:33], v[6:7], v[28:29]
	global_store_b128 v[10:11], v[30:33], off
.LBB41_30:
	s_and_not1_b32 vcc_lo, exec_lo, s6
	s_cbranch_vccnz .LBB41_32
; %bb.31:
	s_wait_xcnt 0x0
	v_mul_u64_e32 v[10:11], s[2:3], v[18:19]
	s_delay_alu instid0(VALU_DEP_1)
	v_lshl_add_u64 v[18:19], v[10:11], 4, v[22:23]
	v_mul_f64_e64 v[10:11], v[12:13], -v[4:5]
	v_mul_f64_e32 v[12:13], v[2:3], v[12:13]
	global_load_b128 v[26:29], v[18:19], off
	v_fmac_f64_e32 v[10:11], v[2:3], v[20:21]
	v_fmac_f64_e32 v[12:13], v[4:5], v[20:21]
                                        ; implicit-def: $vgpr20_vgpr21
	s_wait_loadcnt 0x0
	s_delay_alu instid0(VALU_DEP_2) | instskip(NEXT) | instid1(VALU_DEP_2)
	v_fmac_f64_e32 v[10:11], v[6:7], v[26:27]
	v_fmac_f64_e32 v[12:13], v[8:9], v[26:27]
	s_delay_alu instid0(VALU_DEP_2) | instskip(NEXT) | instid1(VALU_DEP_2)
	v_fma_f64 v[10:11], -v[8:9], v[28:29], v[10:11]
	v_fmac_f64_e32 v[12:13], v[6:7], v[28:29]
	global_store_b128 v[18:19], v[10:13], off
                                        ; implicit-def: $vgpr12_vgpr13
                                        ; implicit-def: $vgpr18
.LBB41_32:
	s_wait_xcnt 0x0
	s_and_not1_saveexec_b32 s5, s5
	s_cbranch_execz .LBB41_37
; %bb.33:
	v_mul_f64_e64 v[10:11], v[12:13], -v[4:5]
	v_mul_f64_e32 v[12:13], v[2:3], v[12:13]
	s_and_b32 vcc_lo, exec_lo, s1
	s_mov_b32 s5, -1
	s_delay_alu instid0(VALU_DEP_2) | instskip(NEXT) | instid1(VALU_DEP_2)
	v_fmac_f64_e32 v[10:11], v[2:3], v[20:21]
	v_fmac_f64_e32 v[12:13], v[4:5], v[20:21]
	s_cbranch_vccz .LBB41_35
; %bb.34:
	v_lshl_add_u64 v[20:21], v[18:19], 4, v[24:25]
	s_mov_b32 s5, 0
	global_store_b128 v[20:21], v[10:13], off
.LBB41_35:
	s_and_not1_b32 vcc_lo, exec_lo, s5
	s_cbranch_vccnz .LBB41_37
; %bb.36:
	v_mul_u64_e32 v[18:19], s[2:3], v[18:19]
	s_delay_alu instid0(VALU_DEP_1)
	v_lshl_add_u64 v[18:19], v[18:19], 4, v[22:23]
	global_store_b128 v[18:19], v[10:13], off
.LBB41_37:
	s_wait_xcnt 0x0
	s_or_b32 exec_lo, exec_lo, s4
	v_cmp_gt_i32_e32 vcc_lo, s11, v0
	s_and_b32 exec_lo, exec_lo, vcc_lo
	s_cbranch_execz .LBB41_48
; %bb.38:
	v_ashrrev_i32_e32 v1, 31, v0
	v_cndmask_b32_e64 v10, 0, 1, s1
	s_and_saveexec_b32 s1, s0
	s_delay_alu instid0(SALU_CYCLE_1)
	s_xor_b32 s0, exec_lo, s1
	s_cbranch_execz .LBB41_43
; %bb.39:
	s_delay_alu instid0(VALU_DEP_1)
	v_cmp_ne_u32_e32 vcc_lo, 1, v10
	s_mov_b32 s1, -1
	s_cbranch_vccnz .LBB41_41
; %bb.40:
	v_lshl_add_u64 v[24:25], v[0:1], 4, v[24:25]
	v_mul_f64_e64 v[18:19], v[14:15], -v[4:5]
	v_mul_f64_e32 v[20:21], v[2:3], v[14:15]
	s_mov_b32 s1, 0
	global_load_b128 v[10:13], v[24:25], off
	v_fmac_f64_e32 v[18:19], v[2:3], v[16:17]
	v_fmac_f64_e32 v[20:21], v[4:5], v[16:17]
	s_wait_loadcnt 0x0
	s_delay_alu instid0(VALU_DEP_2) | instskip(NEXT) | instid1(VALU_DEP_2)
	v_fmac_f64_e32 v[18:19], v[6:7], v[10:11]
	v_fmac_f64_e32 v[20:21], v[8:9], v[10:11]
	s_delay_alu instid0(VALU_DEP_2) | instskip(NEXT) | instid1(VALU_DEP_2)
	v_fma_f64 v[18:19], -v[8:9], v[12:13], v[18:19]
	v_fmac_f64_e32 v[20:21], v[6:7], v[12:13]
	global_store_b128 v[24:25], v[18:21], off
.LBB41_41:
	s_and_not1_b32 vcc_lo, exec_lo, s1
                                        ; implicit-def: $vgpr24_vgpr25
                                        ; implicit-def: $vgpr10
	s_cbranch_vccnz .LBB41_43
; %bb.42:
	v_mul_u64_e32 v[0:1], s[2:3], v[0:1]
	s_wait_xcnt 0x0
	v_mul_f64_e64 v[20:21], v[14:15], -v[4:5]
	v_mul_f64_e32 v[18:19], v[2:3], v[14:15]
                                        ; implicit-def: $vgpr24_vgpr25
                                        ; implicit-def: $vgpr14_vgpr15
	s_delay_alu instid0(VALU_DEP_3) | instskip(NEXT) | instid1(VALU_DEP_3)
	v_lshl_add_u64 v[0:1], v[0:1], 4, v[22:23]
	v_fmac_f64_e32 v[20:21], v[2:3], v[16:17]
	s_delay_alu instid0(VALU_DEP_3) | instskip(SKIP_4) | instid1(VALU_DEP_2)
	v_fmac_f64_e32 v[18:19], v[4:5], v[16:17]
                                        ; implicit-def: $vgpr22_vgpr23
                                        ; implicit-def: $vgpr4_vgpr5
	global_load_b128 v[10:13], v[0:1], off
	s_wait_loadcnt 0x0
	v_fmac_f64_e32 v[20:21], v[6:7], v[10:11]
	v_fmac_f64_e32 v[18:19], v[8:9], v[10:11]
                                        ; implicit-def: $vgpr10
	v_fma_f64 v[16:17], -v[8:9], v[12:13], v[20:21]
	s_delay_alu instid0(VALU_DEP_2)
	v_fmac_f64_e32 v[18:19], v[6:7], v[12:13]
	global_store_b128 v[0:1], v[16:19], off
                                        ; implicit-def: $vgpr0
                                        ; implicit-def: $vgpr16_vgpr17
.LBB41_43:
	s_wait_xcnt 0x0
	s_and_not1_saveexec_b32 s0, s0
	s_cbranch_execz .LBB41_48
; %bb.44:
	v_mul_f64_e64 v[6:7], v[14:15], -v[4:5]
	v_mul_f64_e32 v[8:9], v[2:3], v[14:15]
	v_cmp_ne_u32_e32 vcc_lo, 1, v10
	s_mov_b32 s0, -1
	s_delay_alu instid0(VALU_DEP_3) | instskip(NEXT) | instid1(VALU_DEP_3)
	v_fmac_f64_e32 v[6:7], v[2:3], v[16:17]
	v_fmac_f64_e32 v[8:9], v[4:5], v[16:17]
	s_cbranch_vccnz .LBB41_46
; %bb.45:
	v_lshl_add_u64 v[2:3], v[0:1], 4, v[24:25]
	s_mov_b32 s0, 0
	global_store_b128 v[2:3], v[6:9], off
.LBB41_46:
	s_and_not1_b32 vcc_lo, exec_lo, s0
	s_cbranch_vccnz .LBB41_48
; %bb.47:
	v_mul_u64_e32 v[0:1], s[2:3], v[0:1]
	s_delay_alu instid0(VALU_DEP_1)
	v_lshl_add_u64 v[0:1], v[0:1], 4, v[22:23]
	global_store_b128 v[0:1], v[6:9], off
.LBB41_48:
	s_endpgm
	.section	.rodata,"a",@progbits
	.p2align	6, 0x0
	.amdhsa_kernel _ZN9rocsparseL31bsrmm_large_blockdim_kernel_extILj4ELj16ELj2Eli21rocsparse_complex_numIdES2_S2_S2_EEvb20rocsparse_direction_T3_S4_llNS_24const_host_device_scalarIT7_EEPKT2_PKS4_PKT4_S4_PKT5_llS7_PT6_ll16rocsparse_order_21rocsparse_index_base_b
		.amdhsa_group_segment_fixed_size 2304
		.amdhsa_private_segment_fixed_size 0
		.amdhsa_kernarg_size 156
		.amdhsa_user_sgpr_count 2
		.amdhsa_user_sgpr_dispatch_ptr 0
		.amdhsa_user_sgpr_queue_ptr 0
		.amdhsa_user_sgpr_kernarg_segment_ptr 1
		.amdhsa_user_sgpr_dispatch_id 0
		.amdhsa_user_sgpr_kernarg_preload_length 0
		.amdhsa_user_sgpr_kernarg_preload_offset 0
		.amdhsa_user_sgpr_private_segment_size 0
		.amdhsa_wavefront_size32 1
		.amdhsa_uses_dynamic_stack 0
		.amdhsa_enable_private_segment 0
		.amdhsa_system_sgpr_workgroup_id_x 1
		.amdhsa_system_sgpr_workgroup_id_y 1
		.amdhsa_system_sgpr_workgroup_id_z 0
		.amdhsa_system_sgpr_workgroup_info 0
		.amdhsa_system_vgpr_workitem_id 1
		.amdhsa_next_free_vgpr 46
		.amdhsa_next_free_sgpr 29
		.amdhsa_named_barrier_count 0
		.amdhsa_reserve_vcc 1
		.amdhsa_float_round_mode_32 0
		.amdhsa_float_round_mode_16_64 0
		.amdhsa_float_denorm_mode_32 3
		.amdhsa_float_denorm_mode_16_64 3
		.amdhsa_fp16_overflow 0
		.amdhsa_memory_ordered 1
		.amdhsa_forward_progress 1
		.amdhsa_inst_pref_size 16
		.amdhsa_round_robin_scheduling 0
		.amdhsa_exception_fp_ieee_invalid_op 0
		.amdhsa_exception_fp_denorm_src 0
		.amdhsa_exception_fp_ieee_div_zero 0
		.amdhsa_exception_fp_ieee_overflow 0
		.amdhsa_exception_fp_ieee_underflow 0
		.amdhsa_exception_fp_ieee_inexact 0
		.amdhsa_exception_int_div_zero 0
	.end_amdhsa_kernel
	.section	.text._ZN9rocsparseL31bsrmm_large_blockdim_kernel_extILj4ELj16ELj2Eli21rocsparse_complex_numIdES2_S2_S2_EEvb20rocsparse_direction_T3_S4_llNS_24const_host_device_scalarIT7_EEPKT2_PKS4_PKT4_S4_PKT5_llS7_PT6_ll16rocsparse_order_21rocsparse_index_base_b,"axG",@progbits,_ZN9rocsparseL31bsrmm_large_blockdim_kernel_extILj4ELj16ELj2Eli21rocsparse_complex_numIdES2_S2_S2_EEvb20rocsparse_direction_T3_S4_llNS_24const_host_device_scalarIT7_EEPKT2_PKS4_PKT4_S4_PKT5_llS7_PT6_ll16rocsparse_order_21rocsparse_index_base_b,comdat
.Lfunc_end41:
	.size	_ZN9rocsparseL31bsrmm_large_blockdim_kernel_extILj4ELj16ELj2Eli21rocsparse_complex_numIdES2_S2_S2_EEvb20rocsparse_direction_T3_S4_llNS_24const_host_device_scalarIT7_EEPKT2_PKS4_PKT4_S4_PKT5_llS7_PT6_ll16rocsparse_order_21rocsparse_index_base_b, .Lfunc_end41-_ZN9rocsparseL31bsrmm_large_blockdim_kernel_extILj4ELj16ELj2Eli21rocsparse_complex_numIdES2_S2_S2_EEvb20rocsparse_direction_T3_S4_llNS_24const_host_device_scalarIT7_EEPKT2_PKS4_PKT4_S4_PKT5_llS7_PT6_ll16rocsparse_order_21rocsparse_index_base_b
                                        ; -- End function
	.set _ZN9rocsparseL31bsrmm_large_blockdim_kernel_extILj4ELj16ELj2Eli21rocsparse_complex_numIdES2_S2_S2_EEvb20rocsparse_direction_T3_S4_llNS_24const_host_device_scalarIT7_EEPKT2_PKS4_PKT4_S4_PKT5_llS7_PT6_ll16rocsparse_order_21rocsparse_index_base_b.num_vgpr, 46
	.set _ZN9rocsparseL31bsrmm_large_blockdim_kernel_extILj4ELj16ELj2Eli21rocsparse_complex_numIdES2_S2_S2_EEvb20rocsparse_direction_T3_S4_llNS_24const_host_device_scalarIT7_EEPKT2_PKS4_PKT4_S4_PKT5_llS7_PT6_ll16rocsparse_order_21rocsparse_index_base_b.num_agpr, 0
	.set _ZN9rocsparseL31bsrmm_large_blockdim_kernel_extILj4ELj16ELj2Eli21rocsparse_complex_numIdES2_S2_S2_EEvb20rocsparse_direction_T3_S4_llNS_24const_host_device_scalarIT7_EEPKT2_PKS4_PKT4_S4_PKT5_llS7_PT6_ll16rocsparse_order_21rocsparse_index_base_b.numbered_sgpr, 29
	.set _ZN9rocsparseL31bsrmm_large_blockdim_kernel_extILj4ELj16ELj2Eli21rocsparse_complex_numIdES2_S2_S2_EEvb20rocsparse_direction_T3_S4_llNS_24const_host_device_scalarIT7_EEPKT2_PKS4_PKT4_S4_PKT5_llS7_PT6_ll16rocsparse_order_21rocsparse_index_base_b.num_named_barrier, 0
	.set _ZN9rocsparseL31bsrmm_large_blockdim_kernel_extILj4ELj16ELj2Eli21rocsparse_complex_numIdES2_S2_S2_EEvb20rocsparse_direction_T3_S4_llNS_24const_host_device_scalarIT7_EEPKT2_PKS4_PKT4_S4_PKT5_llS7_PT6_ll16rocsparse_order_21rocsparse_index_base_b.private_seg_size, 0
	.set _ZN9rocsparseL31bsrmm_large_blockdim_kernel_extILj4ELj16ELj2Eli21rocsparse_complex_numIdES2_S2_S2_EEvb20rocsparse_direction_T3_S4_llNS_24const_host_device_scalarIT7_EEPKT2_PKS4_PKT4_S4_PKT5_llS7_PT6_ll16rocsparse_order_21rocsparse_index_base_b.uses_vcc, 1
	.set _ZN9rocsparseL31bsrmm_large_blockdim_kernel_extILj4ELj16ELj2Eli21rocsparse_complex_numIdES2_S2_S2_EEvb20rocsparse_direction_T3_S4_llNS_24const_host_device_scalarIT7_EEPKT2_PKS4_PKT4_S4_PKT5_llS7_PT6_ll16rocsparse_order_21rocsparse_index_base_b.uses_flat_scratch, 0
	.set _ZN9rocsparseL31bsrmm_large_blockdim_kernel_extILj4ELj16ELj2Eli21rocsparse_complex_numIdES2_S2_S2_EEvb20rocsparse_direction_T3_S4_llNS_24const_host_device_scalarIT7_EEPKT2_PKS4_PKT4_S4_PKT5_llS7_PT6_ll16rocsparse_order_21rocsparse_index_base_b.has_dyn_sized_stack, 0
	.set _ZN9rocsparseL31bsrmm_large_blockdim_kernel_extILj4ELj16ELj2Eli21rocsparse_complex_numIdES2_S2_S2_EEvb20rocsparse_direction_T3_S4_llNS_24const_host_device_scalarIT7_EEPKT2_PKS4_PKT4_S4_PKT5_llS7_PT6_ll16rocsparse_order_21rocsparse_index_base_b.has_recursion, 0
	.set _ZN9rocsparseL31bsrmm_large_blockdim_kernel_extILj4ELj16ELj2Eli21rocsparse_complex_numIdES2_S2_S2_EEvb20rocsparse_direction_T3_S4_llNS_24const_host_device_scalarIT7_EEPKT2_PKS4_PKT4_S4_PKT5_llS7_PT6_ll16rocsparse_order_21rocsparse_index_base_b.has_indirect_call, 0
	.section	.AMDGPU.csdata,"",@progbits
; Kernel info:
; codeLenInByte = 2040
; TotalNumSgprs: 31
; NumVgprs: 46
; ScratchSize: 0
; MemoryBound: 0
; FloatMode: 240
; IeeeMode: 1
; LDSByteSize: 2304 bytes/workgroup (compile time only)
; SGPRBlocks: 0
; VGPRBlocks: 2
; NumSGPRsForWavesPerEU: 31
; NumVGPRsForWavesPerEU: 46
; NamedBarCnt: 0
; Occupancy: 16
; WaveLimiterHint : 0
; COMPUTE_PGM_RSRC2:SCRATCH_EN: 0
; COMPUTE_PGM_RSRC2:USER_SGPR: 2
; COMPUTE_PGM_RSRC2:TRAP_HANDLER: 0
; COMPUTE_PGM_RSRC2:TGID_X_EN: 1
; COMPUTE_PGM_RSRC2:TGID_Y_EN: 1
; COMPUTE_PGM_RSRC2:TGID_Z_EN: 0
; COMPUTE_PGM_RSRC2:TIDIG_COMP_CNT: 1
	.section	.text._ZN9rocsparseL31bsrmm_large_blockdim_kernel_extILj16ELj16ELj2Eli21rocsparse_complex_numIdES2_S2_S2_EEvb20rocsparse_direction_T3_S4_llNS_24const_host_device_scalarIT7_EEPKT2_PKS4_PKT4_S4_PKT5_llS7_PT6_ll16rocsparse_order_21rocsparse_index_base_b,"axG",@progbits,_ZN9rocsparseL31bsrmm_large_blockdim_kernel_extILj16ELj16ELj2Eli21rocsparse_complex_numIdES2_S2_S2_EEvb20rocsparse_direction_T3_S4_llNS_24const_host_device_scalarIT7_EEPKT2_PKS4_PKT4_S4_PKT5_llS7_PT6_ll16rocsparse_order_21rocsparse_index_base_b,comdat
	.globl	_ZN9rocsparseL31bsrmm_large_blockdim_kernel_extILj16ELj16ELj2Eli21rocsparse_complex_numIdES2_S2_S2_EEvb20rocsparse_direction_T3_S4_llNS_24const_host_device_scalarIT7_EEPKT2_PKS4_PKT4_S4_PKT5_llS7_PT6_ll16rocsparse_order_21rocsparse_index_base_b ; -- Begin function _ZN9rocsparseL31bsrmm_large_blockdim_kernel_extILj16ELj16ELj2Eli21rocsparse_complex_numIdES2_S2_S2_EEvb20rocsparse_direction_T3_S4_llNS_24const_host_device_scalarIT7_EEPKT2_PKS4_PKT4_S4_PKT5_llS7_PT6_ll16rocsparse_order_21rocsparse_index_base_b
	.p2align	8
	.type	_ZN9rocsparseL31bsrmm_large_blockdim_kernel_extILj16ELj16ELj2Eli21rocsparse_complex_numIdES2_S2_S2_EEvb20rocsparse_direction_T3_S4_llNS_24const_host_device_scalarIT7_EEPKT2_PKS4_PKT4_S4_PKT5_llS7_PT6_ll16rocsparse_order_21rocsparse_index_base_b,@function
_ZN9rocsparseL31bsrmm_large_blockdim_kernel_extILj16ELj16ELj2Eli21rocsparse_complex_numIdES2_S2_S2_EEvb20rocsparse_direction_T3_S4_llNS_24const_host_device_scalarIT7_EEPKT2_PKS4_PKT4_S4_PKT5_llS7_PT6_ll16rocsparse_order_21rocsparse_index_base_b: ; @_ZN9rocsparseL31bsrmm_large_blockdim_kernel_extILj16ELj16ELj2Eli21rocsparse_complex_numIdES2_S2_S2_EEvb20rocsparse_direction_T3_S4_llNS_24const_host_device_scalarIT7_EEPKT2_PKS4_PKT4_S4_PKT5_llS7_PT6_ll16rocsparse_order_21rocsparse_index_base_b
; %bb.0:
	s_clause 0x1
	s_load_b96 s[20:22], s[0:1], 0x90
	s_load_b64 s[2:3], s[0:1], 0x20
	v_mov_b32_e32 v1, 0
	s_add_nc_u64 s[4:5], s[0:1], 32
	s_load_b64 s[6:7], s[0:1], 0x68
	s_wait_kmcnt 0x0
	s_bitcmp1_b32 s22, 0
	s_cselect_b32 s3, s5, s3
	s_cselect_b32 s2, s4, s2
	flat_load_b128 v[2:5], v1, s[2:3]
	s_wait_xcnt 0x0
	s_add_nc_u64 s[2:3], s[0:1], 0x68
	s_delay_alu instid0(SALU_CYCLE_1)
	s_cselect_b32 s3, s3, s7
	s_cselect_b32 s2, s2, s6
	flat_load_b128 v[6:9], v1, s[2:3]
	s_wait_loadcnt_dscnt 0x101
	v_cmp_eq_f64_e32 vcc_lo, 0, v[2:3]
	s_wait_xcnt 0x0
	v_cmp_eq_f64_e64 s2, 0, v[4:5]
	s_and_b32 s4, vcc_lo, s2
	s_mov_b32 s2, -1
	s_and_saveexec_b32 s3, s4
	s_cbranch_execz .LBB42_2
; %bb.1:
	s_wait_loadcnt_dscnt 0x0
	v_cmp_neq_f64_e32 vcc_lo, 1.0, v[6:7]
	v_cmp_neq_f64_e64 s2, 0, v[8:9]
	s_or_b32 s2, vcc_lo, s2
	s_delay_alu instid0(SALU_CYCLE_1)
	s_or_not1_b32 s2, s2, exec_lo
.LBB42_2:
	s_or_b32 exec_lo, exec_lo, s3
	s_and_saveexec_b32 s3, s2
	s_cbranch_execz .LBB42_48
; %bb.3:
	s_clause 0x1
	s_load_b128 s[8:11], s[0:1], 0x0
	s_load_b64 s[2:3], s[0:1], 0x30
	s_bfe_u32 s4, ttmp6, 0x4000c
	s_and_b32 s5, ttmp6, 15
	s_add_co_i32 s4, s4, 1
	s_getreg_b32 s12, hwreg(HW_REG_IB_STS2, 6, 4)
	s_mul_i32 s4, ttmp9, s4
	s_mov_b64 s[22:23], 0
	s_add_co_i32 s5, s5, s4
	s_cmp_eq_u32 s12, 0
	s_mov_b64 s[24:25], 0
	s_cselect_b32 s6, ttmp9, s5
	s_mov_b32 s5, 0
	s_wait_kmcnt 0x0
	s_cmp_lt_i32 s6, s10
	s_cselect_b32 s28, -1, 0
	s_cmp_ge_i32 s6, s10
	s_cbranch_scc1 .LBB42_5
; %bb.4:
	s_ashr_i32 s7, s6, 31
	s_mov_b32 s4, s21
	s_lshl_b64 s[14:15], s[6:7], 3
	s_delay_alu instid0(SALU_CYCLE_1)
	s_add_nc_u64 s[14:15], s[2:3], s[14:15]
	s_load_b64 s[14:15], s[14:15], 0x0
	s_wait_kmcnt 0x0
	s_sub_nc_u64 s[24:25], s[14:15], s[4:5]
.LBB42_5:
	s_and_not1_b32 vcc_lo, exec_lo, s28
	s_cbranch_vccnz .LBB42_7
; %bb.6:
	s_ashr_i32 s7, s6, 31
	s_delay_alu instid0(SALU_CYCLE_1) | instskip(NEXT) | instid1(SALU_CYCLE_1)
	s_lshl_b64 s[4:5], s[6:7], 3
	s_add_nc_u64 s[2:3], s[2:3], s[4:5]
	s_mov_b32 s5, 0
	s_load_b64 s[2:3], s[2:3], 0x8
	s_mov_b32 s4, s21
	s_wait_kmcnt 0x0
	s_sub_nc_u64 s[22:23], s[2:3], s[4:5]
.LBB42_7:
	s_bfe_u32 s2, ttmp6, 0x40010
	s_load_b32 s7, s[0:1], 0x48
	s_add_co_i32 s2, s2, 1
	s_bfe_u32 s3, ttmp6, 0x40004
	s_mul_i32 s2, ttmp7, s2
	v_bfe_u32 v24, v0, 10, 10
	s_add_co_i32 s3, s3, s2
	s_cmp_eq_u32 s12, 0
	v_and_b32_e32 v30, 0x3ff, v0
	s_cselect_b32 s2, ttmp7, s3
	v_cmp_ge_i64_e64 s3, s[24:25], s[22:23]
	v_lshl_add_u32 v18, s2, 5, v24
	v_mov_b64_e32 v[20:21], 0
	v_mov_b64_e32 v[12:13], 0
	;; [unrolled: 1-line block ×4, first 2 shown]
	v_add_nc_u32_e32 v0, 16, v18
	s_and_b32 vcc_lo, exec_lo, s3
	v_cmp_gt_i32_e64 s3, s11, v18
	s_mov_b32 s27, 0
	s_wait_kmcnt 0x0
	v_cmp_gt_i32_e64 s2, s7, v30
	v_cmp_gt_i32_e64 s4, s11, v0
	s_cbranch_vccnz .LBB42_25
; %bb.8:
	s_clause 0x1
	s_load_b128 s[12:15], s[0:1], 0x38
	s_load_b128 s[16:19], s[0:1], 0x50
	v_mul_lo_u32 v12, s7, v24
	v_dual_mov_b32 v13, 0 :: v_dual_ashrrev_i32 v19, 31, v18
	v_dual_ashrrev_i32 v1, 31, v0 :: v_dual_lshlrev_b32 v26, 4, v30
	v_cmp_gt_i32_e32 vcc_lo, s7, v24
	v_dual_lshlrev_b32 v20, 4, v24 :: v_dual_lshlrev_b32 v31, 8, v24
	s_delay_alu instid0(VALU_DEP_4) | instskip(SKIP_2) | instid1(VALU_DEP_3)
	v_dual_mov_b32 v27, v13 :: v_dual_mov_b32 v21, v13
	v_lshl_add_u32 v32, v30, 8, 0x2000
	s_and_b32 s10, s2, vcc_lo
	v_add_nc_u32_e32 v33, v31, v26
	s_bitcmp1_b32 s8, 0
	v_mov_b64_e32 v[14:15], 0
	s_cselect_b32 s5, -1, 0
	s_cmp_eq_u32 s9, 0
	v_add_nc_u32_e32 v34, v32, v20
	s_wait_kmcnt 0x0
	v_lshl_add_u64 v[16:17], v[12:13], 4, s[14:15]
	v_mul_u64_e32 v[10:11], s[18:19], v[18:19]
	v_mul_u64_e32 v[22:23], s[18:19], v[0:1]
	v_mul_lo_u32 v12, s7, v30
	s_cselect_b32 vcc_lo, -1, 0
	v_add_nc_u64_e32 v[24:25], v[16:17], v[26:27]
	v_mov_b64_e32 v[16:17], 0
	v_add_nc_u32_e32 v36, 0x1000, v31
	s_mul_i32 s26, s7, s7
	s_delay_alu instid0(VALU_DEP_4) | instskip(NEXT) | instid1(VALU_DEP_1)
	v_lshl_add_u64 v[12:13], v[12:13], 4, s[14:15]
	v_add_nc_u64_e32 v[26:27], v[12:13], v[20:21]
	v_mov_b64_e32 v[12:13], 0
	v_mov_b64_e32 v[20:21], 0
	s_delay_alu instid0(VALU_DEP_3) | instskip(NEXT) | instid1(VALU_DEP_4)
	v_dual_cndmask_b32 v24, v24, v26 :: v_dual_add_nc_u32 v35, 0x1000, v33
	v_cndmask_b32_e32 v25, v25, v27, vcc_lo
	s_branch .LBB42_11
.LBB42_9:                               ;   in Loop: Header=BB42_11 Depth=1
	s_or_b32 exec_lo, exec_lo, s9
.LBB42_10:                              ;   in Loop: Header=BB42_11 Depth=1
	s_delay_alu instid0(SALU_CYCLE_1) | instskip(SKIP_1) | instid1(SALU_CYCLE_1)
	s_or_b32 exec_lo, exec_lo, s8
	s_add_nc_u64 s[24:25], s[24:25], 1
	v_cmp_ge_i64_e64 s8, s[24:25], s[22:23]
	s_barrier_signal -1
	s_barrier_wait -1
	s_and_b32 vcc_lo, exec_lo, s8
	s_cbranch_vccnz .LBB42_25
.LBB42_11:                              ; =>This Loop Header: Depth=1
                                        ;     Child Loop BB42_21 Depth 2
                                        ;     Child Loop BB42_24 Depth 2
	s_and_saveexec_b32 s8, s2
	s_cbranch_execz .LBB42_16
; %bb.12:                               ;   in Loop: Header=BB42_11 Depth=1
	s_lshl_b64 s[14:15], s[24:25], 2
	s_delay_alu instid0(SALU_CYCLE_1) | instskip(SKIP_3) | instid1(SALU_CYCLE_1)
	s_add_nc_u64 s[14:15], s[12:13], s[14:15]
	s_load_b32 s9, s[14:15], 0x0
	s_wait_kmcnt 0x0
	s_sub_co_i32 s9, s9, s21
	v_mad_u32 v28, s9, s7, v30
	s_delay_alu instid0(VALU_DEP_1) | instskip(NEXT) | instid1(VALU_DEP_1)
	v_ashrrev_i32_e32 v29, 31, v28
	v_mul_u64_e32 v[26:27], s[18:19], v[28:29]
	v_lshl_add_u64 v[28:29], v[28:29], 4, s[16:17]
	s_delay_alu instid0(VALU_DEP_2)
	v_lshl_add_u64 v[26:27], v[26:27], 4, s[16:17]
	s_and_saveexec_b32 s9, s3
	s_cbranch_execz .LBB42_14
; %bb.13:                               ;   in Loop: Header=BB42_11 Depth=1
	s_delay_alu instid0(VALU_DEP_2) | instskip(NEXT) | instid1(VALU_DEP_2)
	v_lshl_add_u64 v[38:39], v[10:11], 4, v[28:29]
	v_lshl_add_u64 v[40:41], v[18:19], 4, v[26:27]
	s_delay_alu instid0(VALU_DEP_1)
	v_dual_cndmask_b32 v39, v41, v39, s5 :: v_dual_cndmask_b32 v38, v40, v38, s5
	global_load_b128 v[38:41], v[38:39], off
	s_wait_loadcnt 0x0
	ds_store_2addr_b64 v33, v[38:39], v[40:41] offset1:1
.LBB42_14:                              ;   in Loop: Header=BB42_11 Depth=1
	s_or_b32 exec_lo, exec_lo, s9
	s_delay_alu instid0(SALU_CYCLE_1)
	s_and_b32 exec_lo, exec_lo, s4
	s_cbranch_execz .LBB42_16
; %bb.15:                               ;   in Loop: Header=BB42_11 Depth=1
	v_lshl_add_u64 v[28:29], v[22:23], 4, v[28:29]
	v_lshl_add_u64 v[26:27], v[0:1], 4, v[26:27]
	s_delay_alu instid0(VALU_DEP_1)
	v_dual_cndmask_b32 v27, v27, v29, s5 :: v_dual_cndmask_b32 v26, v26, v28, s5
	global_load_b128 v[26:29], v[26:27], off
	s_wait_loadcnt 0x0
	ds_store_2addr_b64 v35, v[26:27], v[28:29] offset1:1
.LBB42_16:                              ;   in Loop: Header=BB42_11 Depth=1
	s_or_b32 exec_lo, exec_lo, s8
	s_and_saveexec_b32 s8, s10
	s_cbranch_execz .LBB42_18
; %bb.17:                               ;   in Loop: Header=BB42_11 Depth=1
	s_mul_u64 s[14:15], s[24:25], s[26:27]
	s_delay_alu instid0(SALU_CYCLE_1)
	v_lshl_add_u64 v[26:27], s[14:15], 4, v[24:25]
	global_load_b128 v[26:29], v[26:27], off
	s_wait_loadcnt 0x0
	ds_store_2addr_b64 v34, v[26:27], v[28:29] offset1:1
.LBB42_18:                              ;   in Loop: Header=BB42_11 Depth=1
	s_or_b32 exec_lo, exec_lo, s8
	s_wait_loadcnt_dscnt 0x0
	s_barrier_signal -1
	s_barrier_wait -1
	s_and_saveexec_b32 s8, s2
	s_cbranch_execz .LBB42_10
; %bb.19:                               ;   in Loop: Header=BB42_11 Depth=1
	s_and_saveexec_b32 s9, s3
	s_cbranch_execz .LBB42_22
; %bb.20:                               ;   in Loop: Header=BB42_11 Depth=1
	v_dual_mov_b32 v26, v32 :: v_dual_mov_b32 v27, v31
	s_mov_b32 s14, s7
.LBB42_21:                              ;   Parent Loop BB42_11 Depth=1
                                        ; =>  This Inner Loop Header: Depth=2
	ds_load_b128 v[38:41], v26
	ds_load_b128 v[42:45], v27
	v_add_nc_u32_e32 v26, 16, v26
	s_add_co_i32 s14, s14, -1
	v_add_nc_u32_e32 v27, 16, v27
	s_cmp_lg_u32 s14, 0
	s_wait_dscnt 0x0
	v_fmac_f64_e32 v[20:21], v[38:39], v[42:43]
	v_fmac_f64_e32 v[12:13], v[40:41], v[42:43]
	s_delay_alu instid0(VALU_DEP_2) | instskip(NEXT) | instid1(VALU_DEP_2)
	v_fma_f64 v[20:21], -v[40:41], v[44:45], v[20:21]
	v_fmac_f64_e32 v[12:13], v[38:39], v[44:45]
	s_cbranch_scc1 .LBB42_21
.LBB42_22:                              ;   in Loop: Header=BB42_11 Depth=1
	s_or_b32 exec_lo, exec_lo, s9
	s_and_saveexec_b32 s9, s4
	s_cbranch_execz .LBB42_9
; %bb.23:                               ;   in Loop: Header=BB42_11 Depth=1
	v_dual_mov_b32 v26, v32 :: v_dual_mov_b32 v27, v36
	s_mov_b32 s14, s7
.LBB42_24:                              ;   Parent Loop BB42_11 Depth=1
                                        ; =>  This Inner Loop Header: Depth=2
	ds_load_b128 v[38:41], v26
	ds_load_b128 v[42:45], v27
	v_add_nc_u32_e32 v26, 16, v26
	s_add_co_i32 s14, s14, -1
	v_add_nc_u32_e32 v27, 16, v27
	s_cmp_lg_u32 s14, 0
	s_wait_dscnt 0x0
	v_fmac_f64_e32 v[16:17], v[38:39], v[42:43]
	v_fmac_f64_e32 v[14:15], v[40:41], v[42:43]
	s_delay_alu instid0(VALU_DEP_2) | instskip(NEXT) | instid1(VALU_DEP_2)
	v_fma_f64 v[16:17], -v[40:41], v[44:45], v[16:17]
	v_fmac_f64_e32 v[14:15], v[38:39], v[44:45]
	s_cbranch_scc1 .LBB42_24
	s_branch .LBB42_9
.LBB42_25:
	s_load_b64 s[4:5], s[0:1], 0x78
	s_and_b32 s2, s28, s2
	s_delay_alu instid0(SALU_CYCLE_1)
	s_and_b32 exec_lo, exec_lo, s2
	s_cbranch_execz .LBB42_48
; %bb.26:
	s_load_b64 s[2:3], s[0:1], 0x80
	v_mad_u32 v10, s7, s6, v30
	s_wait_loadcnt_dscnt 0x0
	v_cmp_neq_f64_e32 vcc_lo, 0, v[6:7]
	s_wait_xcnt 0x0
	v_cmp_neq_f64_e64 s0, 0, v[8:9]
	s_delay_alu instid0(VALU_DEP_3) | instskip(SKIP_1) | instid1(VALU_DEP_1)
	v_ashrrev_i32_e32 v11, 31, v10
	s_wait_kmcnt 0x0
	v_lshl_add_u64 v[22:23], v[10:11], 4, s[4:5]
	v_mul_u64_e32 v[24:25], s[2:3], v[10:11]
	s_or_b32 s0, vcc_lo, s0
	s_cmp_lg_u32 s20, 1
	s_cselect_b32 s1, -1, 0
	s_delay_alu instid0(VALU_DEP_1)
	v_lshl_add_u64 v[24:25], v[24:25], 4, s[4:5]
	s_mov_b32 s4, exec_lo
	v_cmpx_gt_i32_e64 s11, v18
	s_cbranch_execz .LBB42_37
; %bb.27:
	v_ashrrev_i32_e32 v19, 31, v18
	s_and_saveexec_b32 s5, s0
	s_delay_alu instid0(SALU_CYCLE_1)
	s_xor_b32 s5, exec_lo, s5
	s_cbranch_execz .LBB42_32
; %bb.28:
	s_and_b32 vcc_lo, exec_lo, s1
	s_mov_b32 s6, -1
	s_cbranch_vccz .LBB42_30
; %bb.29:
	v_lshl_add_u64 v[10:11], v[18:19], 4, v[24:25]
	v_mul_f64_e64 v[30:31], v[12:13], -v[4:5]
	v_mul_f64_e32 v[32:33], v[2:3], v[12:13]
	s_mov_b32 s6, 0
	global_load_b128 v[26:29], v[10:11], off
	v_fmac_f64_e32 v[30:31], v[2:3], v[20:21]
	v_fmac_f64_e32 v[32:33], v[4:5], v[20:21]
	s_wait_loadcnt 0x0
	s_delay_alu instid0(VALU_DEP_2) | instskip(NEXT) | instid1(VALU_DEP_2)
	v_fmac_f64_e32 v[30:31], v[6:7], v[26:27]
	v_fmac_f64_e32 v[32:33], v[8:9], v[26:27]
	s_delay_alu instid0(VALU_DEP_2) | instskip(NEXT) | instid1(VALU_DEP_2)
	v_fma_f64 v[30:31], -v[8:9], v[28:29], v[30:31]
	v_fmac_f64_e32 v[32:33], v[6:7], v[28:29]
	global_store_b128 v[10:11], v[30:33], off
.LBB42_30:
	s_and_not1_b32 vcc_lo, exec_lo, s6
	s_cbranch_vccnz .LBB42_32
; %bb.31:
	s_wait_xcnt 0x0
	v_mul_u64_e32 v[10:11], s[2:3], v[18:19]
	s_delay_alu instid0(VALU_DEP_1)
	v_lshl_add_u64 v[18:19], v[10:11], 4, v[22:23]
	v_mul_f64_e64 v[10:11], v[12:13], -v[4:5]
	v_mul_f64_e32 v[12:13], v[2:3], v[12:13]
	global_load_b128 v[26:29], v[18:19], off
	v_fmac_f64_e32 v[10:11], v[2:3], v[20:21]
	v_fmac_f64_e32 v[12:13], v[4:5], v[20:21]
                                        ; implicit-def: $vgpr20_vgpr21
	s_wait_loadcnt 0x0
	s_delay_alu instid0(VALU_DEP_2) | instskip(NEXT) | instid1(VALU_DEP_2)
	v_fmac_f64_e32 v[10:11], v[6:7], v[26:27]
	v_fmac_f64_e32 v[12:13], v[8:9], v[26:27]
	s_delay_alu instid0(VALU_DEP_2) | instskip(NEXT) | instid1(VALU_DEP_2)
	v_fma_f64 v[10:11], -v[8:9], v[28:29], v[10:11]
	v_fmac_f64_e32 v[12:13], v[6:7], v[28:29]
	global_store_b128 v[18:19], v[10:13], off
                                        ; implicit-def: $vgpr12_vgpr13
                                        ; implicit-def: $vgpr18
.LBB42_32:
	s_wait_xcnt 0x0
	s_and_not1_saveexec_b32 s5, s5
	s_cbranch_execz .LBB42_37
; %bb.33:
	v_mul_f64_e64 v[10:11], v[12:13], -v[4:5]
	v_mul_f64_e32 v[12:13], v[2:3], v[12:13]
	s_and_b32 vcc_lo, exec_lo, s1
	s_mov_b32 s5, -1
	s_delay_alu instid0(VALU_DEP_2) | instskip(NEXT) | instid1(VALU_DEP_2)
	v_fmac_f64_e32 v[10:11], v[2:3], v[20:21]
	v_fmac_f64_e32 v[12:13], v[4:5], v[20:21]
	s_cbranch_vccz .LBB42_35
; %bb.34:
	v_lshl_add_u64 v[20:21], v[18:19], 4, v[24:25]
	s_mov_b32 s5, 0
	global_store_b128 v[20:21], v[10:13], off
.LBB42_35:
	s_and_not1_b32 vcc_lo, exec_lo, s5
	s_cbranch_vccnz .LBB42_37
; %bb.36:
	v_mul_u64_e32 v[18:19], s[2:3], v[18:19]
	s_delay_alu instid0(VALU_DEP_1)
	v_lshl_add_u64 v[18:19], v[18:19], 4, v[22:23]
	global_store_b128 v[18:19], v[10:13], off
.LBB42_37:
	s_wait_xcnt 0x0
	s_or_b32 exec_lo, exec_lo, s4
	v_cmp_gt_i32_e32 vcc_lo, s11, v0
	s_and_b32 exec_lo, exec_lo, vcc_lo
	s_cbranch_execz .LBB42_48
; %bb.38:
	v_ashrrev_i32_e32 v1, 31, v0
	v_cndmask_b32_e64 v10, 0, 1, s1
	s_and_saveexec_b32 s1, s0
	s_delay_alu instid0(SALU_CYCLE_1)
	s_xor_b32 s0, exec_lo, s1
	s_cbranch_execz .LBB42_43
; %bb.39:
	s_delay_alu instid0(VALU_DEP_1)
	v_cmp_ne_u32_e32 vcc_lo, 1, v10
	s_mov_b32 s1, -1
	s_cbranch_vccnz .LBB42_41
; %bb.40:
	v_lshl_add_u64 v[24:25], v[0:1], 4, v[24:25]
	v_mul_f64_e64 v[18:19], v[14:15], -v[4:5]
	v_mul_f64_e32 v[20:21], v[2:3], v[14:15]
	s_mov_b32 s1, 0
	global_load_b128 v[10:13], v[24:25], off
	v_fmac_f64_e32 v[18:19], v[2:3], v[16:17]
	v_fmac_f64_e32 v[20:21], v[4:5], v[16:17]
	s_wait_loadcnt 0x0
	s_delay_alu instid0(VALU_DEP_2) | instskip(NEXT) | instid1(VALU_DEP_2)
	v_fmac_f64_e32 v[18:19], v[6:7], v[10:11]
	v_fmac_f64_e32 v[20:21], v[8:9], v[10:11]
	s_delay_alu instid0(VALU_DEP_2) | instskip(NEXT) | instid1(VALU_DEP_2)
	v_fma_f64 v[18:19], -v[8:9], v[12:13], v[18:19]
	v_fmac_f64_e32 v[20:21], v[6:7], v[12:13]
	global_store_b128 v[24:25], v[18:21], off
.LBB42_41:
	s_and_not1_b32 vcc_lo, exec_lo, s1
                                        ; implicit-def: $vgpr24_vgpr25
                                        ; implicit-def: $vgpr10
	s_cbranch_vccnz .LBB42_43
; %bb.42:
	v_mul_u64_e32 v[0:1], s[2:3], v[0:1]
	s_wait_xcnt 0x0
	v_mul_f64_e64 v[20:21], v[14:15], -v[4:5]
	v_mul_f64_e32 v[18:19], v[2:3], v[14:15]
                                        ; implicit-def: $vgpr24_vgpr25
                                        ; implicit-def: $vgpr14_vgpr15
	s_delay_alu instid0(VALU_DEP_3) | instskip(NEXT) | instid1(VALU_DEP_3)
	v_lshl_add_u64 v[0:1], v[0:1], 4, v[22:23]
	v_fmac_f64_e32 v[20:21], v[2:3], v[16:17]
	s_delay_alu instid0(VALU_DEP_3) | instskip(SKIP_4) | instid1(VALU_DEP_2)
	v_fmac_f64_e32 v[18:19], v[4:5], v[16:17]
                                        ; implicit-def: $vgpr22_vgpr23
                                        ; implicit-def: $vgpr4_vgpr5
	global_load_b128 v[10:13], v[0:1], off
	s_wait_loadcnt 0x0
	v_fmac_f64_e32 v[20:21], v[6:7], v[10:11]
	v_fmac_f64_e32 v[18:19], v[8:9], v[10:11]
                                        ; implicit-def: $vgpr10
	v_fma_f64 v[16:17], -v[8:9], v[12:13], v[20:21]
	s_delay_alu instid0(VALU_DEP_2)
	v_fmac_f64_e32 v[18:19], v[6:7], v[12:13]
	global_store_b128 v[0:1], v[16:19], off
                                        ; implicit-def: $vgpr0
                                        ; implicit-def: $vgpr16_vgpr17
.LBB42_43:
	s_wait_xcnt 0x0
	s_and_not1_saveexec_b32 s0, s0
	s_cbranch_execz .LBB42_48
; %bb.44:
	v_mul_f64_e64 v[6:7], v[14:15], -v[4:5]
	v_mul_f64_e32 v[8:9], v[2:3], v[14:15]
	v_cmp_ne_u32_e32 vcc_lo, 1, v10
	s_mov_b32 s0, -1
	s_delay_alu instid0(VALU_DEP_3) | instskip(NEXT) | instid1(VALU_DEP_3)
	v_fmac_f64_e32 v[6:7], v[2:3], v[16:17]
	v_fmac_f64_e32 v[8:9], v[4:5], v[16:17]
	s_cbranch_vccnz .LBB42_46
; %bb.45:
	v_lshl_add_u64 v[2:3], v[0:1], 4, v[24:25]
	s_mov_b32 s0, 0
	global_store_b128 v[2:3], v[6:9], off
.LBB42_46:
	s_and_not1_b32 vcc_lo, exec_lo, s0
	s_cbranch_vccnz .LBB42_48
; %bb.47:
	v_mul_u64_e32 v[0:1], s[2:3], v[0:1]
	s_delay_alu instid0(VALU_DEP_1)
	v_lshl_add_u64 v[0:1], v[0:1], 4, v[22:23]
	global_store_b128 v[0:1], v[6:9], off
.LBB42_48:
	s_endpgm
	.section	.rodata,"a",@progbits
	.p2align	6, 0x0
	.amdhsa_kernel _ZN9rocsparseL31bsrmm_large_blockdim_kernel_extILj16ELj16ELj2Eli21rocsparse_complex_numIdES2_S2_S2_EEvb20rocsparse_direction_T3_S4_llNS_24const_host_device_scalarIT7_EEPKT2_PKS4_PKT4_S4_PKT5_llS7_PT6_ll16rocsparse_order_21rocsparse_index_base_b
		.amdhsa_group_segment_fixed_size 12288
		.amdhsa_private_segment_fixed_size 0
		.amdhsa_kernarg_size 156
		.amdhsa_user_sgpr_count 2
		.amdhsa_user_sgpr_dispatch_ptr 0
		.amdhsa_user_sgpr_queue_ptr 0
		.amdhsa_user_sgpr_kernarg_segment_ptr 1
		.amdhsa_user_sgpr_dispatch_id 0
		.amdhsa_user_sgpr_kernarg_preload_length 0
		.amdhsa_user_sgpr_kernarg_preload_offset 0
		.amdhsa_user_sgpr_private_segment_size 0
		.amdhsa_wavefront_size32 1
		.amdhsa_uses_dynamic_stack 0
		.amdhsa_enable_private_segment 0
		.amdhsa_system_sgpr_workgroup_id_x 1
		.amdhsa_system_sgpr_workgroup_id_y 1
		.amdhsa_system_sgpr_workgroup_id_z 0
		.amdhsa_system_sgpr_workgroup_info 0
		.amdhsa_system_vgpr_workitem_id 1
		.amdhsa_next_free_vgpr 46
		.amdhsa_next_free_sgpr 29
		.amdhsa_named_barrier_count 0
		.amdhsa_reserve_vcc 1
		.amdhsa_float_round_mode_32 0
		.amdhsa_float_round_mode_16_64 0
		.amdhsa_float_denorm_mode_32 3
		.amdhsa_float_denorm_mode_16_64 3
		.amdhsa_fp16_overflow 0
		.amdhsa_memory_ordered 1
		.amdhsa_forward_progress 1
		.amdhsa_inst_pref_size 16
		.amdhsa_round_robin_scheduling 0
		.amdhsa_exception_fp_ieee_invalid_op 0
		.amdhsa_exception_fp_denorm_src 0
		.amdhsa_exception_fp_ieee_div_zero 0
		.amdhsa_exception_fp_ieee_overflow 0
		.amdhsa_exception_fp_ieee_underflow 0
		.amdhsa_exception_fp_ieee_inexact 0
		.amdhsa_exception_int_div_zero 0
	.end_amdhsa_kernel
	.section	.text._ZN9rocsparseL31bsrmm_large_blockdim_kernel_extILj16ELj16ELj2Eli21rocsparse_complex_numIdES2_S2_S2_EEvb20rocsparse_direction_T3_S4_llNS_24const_host_device_scalarIT7_EEPKT2_PKS4_PKT4_S4_PKT5_llS7_PT6_ll16rocsparse_order_21rocsparse_index_base_b,"axG",@progbits,_ZN9rocsparseL31bsrmm_large_blockdim_kernel_extILj16ELj16ELj2Eli21rocsparse_complex_numIdES2_S2_S2_EEvb20rocsparse_direction_T3_S4_llNS_24const_host_device_scalarIT7_EEPKT2_PKS4_PKT4_S4_PKT5_llS7_PT6_ll16rocsparse_order_21rocsparse_index_base_b,comdat
.Lfunc_end42:
	.size	_ZN9rocsparseL31bsrmm_large_blockdim_kernel_extILj16ELj16ELj2Eli21rocsparse_complex_numIdES2_S2_S2_EEvb20rocsparse_direction_T3_S4_llNS_24const_host_device_scalarIT7_EEPKT2_PKS4_PKT4_S4_PKT5_llS7_PT6_ll16rocsparse_order_21rocsparse_index_base_b, .Lfunc_end42-_ZN9rocsparseL31bsrmm_large_blockdim_kernel_extILj16ELj16ELj2Eli21rocsparse_complex_numIdES2_S2_S2_EEvb20rocsparse_direction_T3_S4_llNS_24const_host_device_scalarIT7_EEPKT2_PKS4_PKT4_S4_PKT5_llS7_PT6_ll16rocsparse_order_21rocsparse_index_base_b
                                        ; -- End function
	.set _ZN9rocsparseL31bsrmm_large_blockdim_kernel_extILj16ELj16ELj2Eli21rocsparse_complex_numIdES2_S2_S2_EEvb20rocsparse_direction_T3_S4_llNS_24const_host_device_scalarIT7_EEPKT2_PKS4_PKT4_S4_PKT5_llS7_PT6_ll16rocsparse_order_21rocsparse_index_base_b.num_vgpr, 46
	.set _ZN9rocsparseL31bsrmm_large_blockdim_kernel_extILj16ELj16ELj2Eli21rocsparse_complex_numIdES2_S2_S2_EEvb20rocsparse_direction_T3_S4_llNS_24const_host_device_scalarIT7_EEPKT2_PKS4_PKT4_S4_PKT5_llS7_PT6_ll16rocsparse_order_21rocsparse_index_base_b.num_agpr, 0
	.set _ZN9rocsparseL31bsrmm_large_blockdim_kernel_extILj16ELj16ELj2Eli21rocsparse_complex_numIdES2_S2_S2_EEvb20rocsparse_direction_T3_S4_llNS_24const_host_device_scalarIT7_EEPKT2_PKS4_PKT4_S4_PKT5_llS7_PT6_ll16rocsparse_order_21rocsparse_index_base_b.numbered_sgpr, 29
	.set _ZN9rocsparseL31bsrmm_large_blockdim_kernel_extILj16ELj16ELj2Eli21rocsparse_complex_numIdES2_S2_S2_EEvb20rocsparse_direction_T3_S4_llNS_24const_host_device_scalarIT7_EEPKT2_PKS4_PKT4_S4_PKT5_llS7_PT6_ll16rocsparse_order_21rocsparse_index_base_b.num_named_barrier, 0
	.set _ZN9rocsparseL31bsrmm_large_blockdim_kernel_extILj16ELj16ELj2Eli21rocsparse_complex_numIdES2_S2_S2_EEvb20rocsparse_direction_T3_S4_llNS_24const_host_device_scalarIT7_EEPKT2_PKS4_PKT4_S4_PKT5_llS7_PT6_ll16rocsparse_order_21rocsparse_index_base_b.private_seg_size, 0
	.set _ZN9rocsparseL31bsrmm_large_blockdim_kernel_extILj16ELj16ELj2Eli21rocsparse_complex_numIdES2_S2_S2_EEvb20rocsparse_direction_T3_S4_llNS_24const_host_device_scalarIT7_EEPKT2_PKS4_PKT4_S4_PKT5_llS7_PT6_ll16rocsparse_order_21rocsparse_index_base_b.uses_vcc, 1
	.set _ZN9rocsparseL31bsrmm_large_blockdim_kernel_extILj16ELj16ELj2Eli21rocsparse_complex_numIdES2_S2_S2_EEvb20rocsparse_direction_T3_S4_llNS_24const_host_device_scalarIT7_EEPKT2_PKS4_PKT4_S4_PKT5_llS7_PT6_ll16rocsparse_order_21rocsparse_index_base_b.uses_flat_scratch, 0
	.set _ZN9rocsparseL31bsrmm_large_blockdim_kernel_extILj16ELj16ELj2Eli21rocsparse_complex_numIdES2_S2_S2_EEvb20rocsparse_direction_T3_S4_llNS_24const_host_device_scalarIT7_EEPKT2_PKS4_PKT4_S4_PKT5_llS7_PT6_ll16rocsparse_order_21rocsparse_index_base_b.has_dyn_sized_stack, 0
	.set _ZN9rocsparseL31bsrmm_large_blockdim_kernel_extILj16ELj16ELj2Eli21rocsparse_complex_numIdES2_S2_S2_EEvb20rocsparse_direction_T3_S4_llNS_24const_host_device_scalarIT7_EEPKT2_PKS4_PKT4_S4_PKT5_llS7_PT6_ll16rocsparse_order_21rocsparse_index_base_b.has_recursion, 0
	.set _ZN9rocsparseL31bsrmm_large_blockdim_kernel_extILj16ELj16ELj2Eli21rocsparse_complex_numIdES2_S2_S2_EEvb20rocsparse_direction_T3_S4_llNS_24const_host_device_scalarIT7_EEPKT2_PKS4_PKT4_S4_PKT5_llS7_PT6_ll16rocsparse_order_21rocsparse_index_base_b.has_indirect_call, 0
	.section	.AMDGPU.csdata,"",@progbits
; Kernel info:
; codeLenInByte = 2040
; TotalNumSgprs: 31
; NumVgprs: 46
; ScratchSize: 0
; MemoryBound: 0
; FloatMode: 240
; IeeeMode: 1
; LDSByteSize: 12288 bytes/workgroup (compile time only)
; SGPRBlocks: 0
; VGPRBlocks: 2
; NumSGPRsForWavesPerEU: 31
; NumVGPRsForWavesPerEU: 46
; NamedBarCnt: 0
; Occupancy: 16
; WaveLimiterHint : 0
; COMPUTE_PGM_RSRC2:SCRATCH_EN: 0
; COMPUTE_PGM_RSRC2:USER_SGPR: 2
; COMPUTE_PGM_RSRC2:TRAP_HANDLER: 0
; COMPUTE_PGM_RSRC2:TGID_X_EN: 1
; COMPUTE_PGM_RSRC2:TGID_Y_EN: 1
; COMPUTE_PGM_RSRC2:TGID_Z_EN: 0
; COMPUTE_PGM_RSRC2:TIDIG_COMP_CNT: 1
	.section	.text._ZN9rocsparseL31bsrmm_large_blockdim_kernel_extILj32ELj32ELj2Eli21rocsparse_complex_numIdES2_S2_S2_EEvb20rocsparse_direction_T3_S4_llNS_24const_host_device_scalarIT7_EEPKT2_PKS4_PKT4_S4_PKT5_llS7_PT6_ll16rocsparse_order_21rocsparse_index_base_b,"axG",@progbits,_ZN9rocsparseL31bsrmm_large_blockdim_kernel_extILj32ELj32ELj2Eli21rocsparse_complex_numIdES2_S2_S2_EEvb20rocsparse_direction_T3_S4_llNS_24const_host_device_scalarIT7_EEPKT2_PKS4_PKT4_S4_PKT5_llS7_PT6_ll16rocsparse_order_21rocsparse_index_base_b,comdat
	.globl	_ZN9rocsparseL31bsrmm_large_blockdim_kernel_extILj32ELj32ELj2Eli21rocsparse_complex_numIdES2_S2_S2_EEvb20rocsparse_direction_T3_S4_llNS_24const_host_device_scalarIT7_EEPKT2_PKS4_PKT4_S4_PKT5_llS7_PT6_ll16rocsparse_order_21rocsparse_index_base_b ; -- Begin function _ZN9rocsparseL31bsrmm_large_blockdim_kernel_extILj32ELj32ELj2Eli21rocsparse_complex_numIdES2_S2_S2_EEvb20rocsparse_direction_T3_S4_llNS_24const_host_device_scalarIT7_EEPKT2_PKS4_PKT4_S4_PKT5_llS7_PT6_ll16rocsparse_order_21rocsparse_index_base_b
	.p2align	8
	.type	_ZN9rocsparseL31bsrmm_large_blockdim_kernel_extILj32ELj32ELj2Eli21rocsparse_complex_numIdES2_S2_S2_EEvb20rocsparse_direction_T3_S4_llNS_24const_host_device_scalarIT7_EEPKT2_PKS4_PKT4_S4_PKT5_llS7_PT6_ll16rocsparse_order_21rocsparse_index_base_b,@function
_ZN9rocsparseL31bsrmm_large_blockdim_kernel_extILj32ELj32ELj2Eli21rocsparse_complex_numIdES2_S2_S2_EEvb20rocsparse_direction_T3_S4_llNS_24const_host_device_scalarIT7_EEPKT2_PKS4_PKT4_S4_PKT5_llS7_PT6_ll16rocsparse_order_21rocsparse_index_base_b: ; @_ZN9rocsparseL31bsrmm_large_blockdim_kernel_extILj32ELj32ELj2Eli21rocsparse_complex_numIdES2_S2_S2_EEvb20rocsparse_direction_T3_S4_llNS_24const_host_device_scalarIT7_EEPKT2_PKS4_PKT4_S4_PKT5_llS7_PT6_ll16rocsparse_order_21rocsparse_index_base_b
; %bb.0:
	s_clause 0x1
	s_load_b96 s[20:22], s[0:1], 0x90
	s_load_b64 s[2:3], s[0:1], 0x20
	v_mov_b32_e32 v1, 0
	s_add_nc_u64 s[4:5], s[0:1], 32
	s_load_b64 s[6:7], s[0:1], 0x68
	s_wait_kmcnt 0x0
	s_bitcmp1_b32 s22, 0
	s_cselect_b32 s3, s5, s3
	s_cselect_b32 s2, s4, s2
	flat_load_b128 v[2:5], v1, s[2:3]
	s_wait_xcnt 0x0
	s_add_nc_u64 s[2:3], s[0:1], 0x68
	s_delay_alu instid0(SALU_CYCLE_1)
	s_cselect_b32 s3, s3, s7
	s_cselect_b32 s2, s2, s6
	flat_load_b128 v[6:9], v1, s[2:3]
	s_wait_loadcnt_dscnt 0x101
	v_cmp_eq_f64_e32 vcc_lo, 0, v[2:3]
	s_wait_xcnt 0x0
	v_cmp_eq_f64_e64 s2, 0, v[4:5]
	s_and_b32 s4, vcc_lo, s2
	s_mov_b32 s2, -1
	s_and_saveexec_b32 s3, s4
	s_cbranch_execz .LBB43_2
; %bb.1:
	s_wait_loadcnt_dscnt 0x0
	v_cmp_neq_f64_e32 vcc_lo, 1.0, v[6:7]
	v_cmp_neq_f64_e64 s2, 0, v[8:9]
	s_or_b32 s2, vcc_lo, s2
	s_delay_alu instid0(SALU_CYCLE_1)
	s_or_not1_b32 s2, s2, exec_lo
.LBB43_2:
	s_or_b32 exec_lo, exec_lo, s3
	s_and_saveexec_b32 s3, s2
	s_cbranch_execz .LBB43_48
; %bb.3:
	s_clause 0x1
	s_load_b128 s[8:11], s[0:1], 0x0
	s_load_b64 s[2:3], s[0:1], 0x30
	s_bfe_u32 s4, ttmp6, 0x4000c
	s_and_b32 s5, ttmp6, 15
	s_add_co_i32 s4, s4, 1
	s_getreg_b32 s12, hwreg(HW_REG_IB_STS2, 6, 4)
	s_mul_i32 s4, ttmp9, s4
	s_mov_b64 s[22:23], 0
	s_add_co_i32 s5, s5, s4
	s_cmp_eq_u32 s12, 0
	s_mov_b64 s[24:25], 0
	s_cselect_b32 s6, ttmp9, s5
	s_mov_b32 s5, 0
	s_wait_kmcnt 0x0
	s_cmp_lt_i32 s6, s10
	s_cselect_b32 s28, -1, 0
	s_cmp_ge_i32 s6, s10
	s_cbranch_scc1 .LBB43_5
; %bb.4:
	s_ashr_i32 s7, s6, 31
	s_mov_b32 s4, s21
	s_lshl_b64 s[14:15], s[6:7], 3
	s_delay_alu instid0(SALU_CYCLE_1)
	s_add_nc_u64 s[14:15], s[2:3], s[14:15]
	s_load_b64 s[14:15], s[14:15], 0x0
	s_wait_kmcnt 0x0
	s_sub_nc_u64 s[24:25], s[14:15], s[4:5]
.LBB43_5:
	s_and_not1_b32 vcc_lo, exec_lo, s28
	s_cbranch_vccnz .LBB43_7
; %bb.6:
	s_ashr_i32 s7, s6, 31
	s_delay_alu instid0(SALU_CYCLE_1) | instskip(NEXT) | instid1(SALU_CYCLE_1)
	s_lshl_b64 s[4:5], s[6:7], 3
	s_add_nc_u64 s[2:3], s[2:3], s[4:5]
	s_mov_b32 s5, 0
	s_load_b64 s[2:3], s[2:3], 0x8
	s_mov_b32 s4, s21
	s_wait_kmcnt 0x0
	s_sub_nc_u64 s[22:23], s[2:3], s[4:5]
.LBB43_7:
	s_bfe_u32 s2, ttmp6, 0x40010
	s_load_b32 s7, s[0:1], 0x48
	s_add_co_i32 s2, s2, 1
	s_bfe_u32 s3, ttmp6, 0x40004
	s_mul_i32 s2, ttmp7, s2
	v_bfe_u32 v24, v0, 10, 10
	s_add_co_i32 s3, s3, s2
	s_cmp_eq_u32 s12, 0
	v_and_b32_e32 v30, 0x3ff, v0
	s_cselect_b32 s2, ttmp7, s3
	v_cmp_ge_i64_e64 s3, s[24:25], s[22:23]
	v_lshl_add_u32 v18, s2, 6, v24
	v_mov_b64_e32 v[20:21], 0
	v_mov_b64_e32 v[12:13], 0
	;; [unrolled: 1-line block ×4, first 2 shown]
	v_add_nc_u32_e32 v0, 32, v18
	s_and_b32 vcc_lo, exec_lo, s3
	v_cmp_gt_i32_e64 s3, s11, v18
	s_mov_b32 s27, 0
	s_wait_kmcnt 0x0
	v_cmp_gt_i32_e64 s2, s7, v30
	v_cmp_gt_i32_e64 s4, s11, v0
	s_cbranch_vccnz .LBB43_25
; %bb.8:
	s_clause 0x1
	s_load_b128 s[12:15], s[0:1], 0x38
	s_load_b128 s[16:19], s[0:1], 0x50
	v_mul_lo_u32 v12, s7, v24
	v_dual_mov_b32 v13, 0 :: v_dual_ashrrev_i32 v19, 31, v18
	v_dual_ashrrev_i32 v1, 31, v0 :: v_dual_lshlrev_b32 v26, 4, v30
	v_cmp_gt_i32_e32 vcc_lo, s7, v24
	v_dual_lshlrev_b32 v20, 4, v24 :: v_dual_lshlrev_b32 v31, 9, v24
	s_delay_alu instid0(VALU_DEP_4) | instskip(SKIP_2) | instid1(VALU_DEP_3)
	v_dual_mov_b32 v27, v13 :: v_dual_mov_b32 v21, v13
	v_lshl_add_u32 v32, v30, 9, 0x8000
	s_and_b32 s10, s2, vcc_lo
	v_add_nc_u32_e32 v33, v31, v26
	s_bitcmp1_b32 s8, 0
	v_mov_b64_e32 v[14:15], 0
	s_cselect_b32 s5, -1, 0
	s_cmp_eq_u32 s9, 0
	v_add_nc_u32_e32 v34, v32, v20
	s_wait_kmcnt 0x0
	v_lshl_add_u64 v[16:17], v[12:13], 4, s[14:15]
	v_mul_u64_e32 v[10:11], s[18:19], v[18:19]
	v_mul_u64_e32 v[22:23], s[18:19], v[0:1]
	v_mul_lo_u32 v12, s7, v30
	s_cselect_b32 vcc_lo, -1, 0
	v_add_nc_u64_e32 v[24:25], v[16:17], v[26:27]
	v_mov_b64_e32 v[16:17], 0
	v_add_nc_u32_e32 v36, 0x4000, v31
	s_mul_i32 s26, s7, s7
	s_delay_alu instid0(VALU_DEP_4) | instskip(NEXT) | instid1(VALU_DEP_1)
	v_lshl_add_u64 v[12:13], v[12:13], 4, s[14:15]
	v_add_nc_u64_e32 v[26:27], v[12:13], v[20:21]
	v_mov_b64_e32 v[12:13], 0
	v_mov_b64_e32 v[20:21], 0
	s_delay_alu instid0(VALU_DEP_3) | instskip(NEXT) | instid1(VALU_DEP_4)
	v_dual_cndmask_b32 v24, v24, v26 :: v_dual_add_nc_u32 v35, 0x4000, v33
	v_cndmask_b32_e32 v25, v25, v27, vcc_lo
	s_branch .LBB43_11
.LBB43_9:                               ;   in Loop: Header=BB43_11 Depth=1
	s_or_b32 exec_lo, exec_lo, s9
.LBB43_10:                              ;   in Loop: Header=BB43_11 Depth=1
	s_delay_alu instid0(SALU_CYCLE_1) | instskip(SKIP_1) | instid1(SALU_CYCLE_1)
	s_or_b32 exec_lo, exec_lo, s8
	s_add_nc_u64 s[24:25], s[24:25], 1
	v_cmp_ge_i64_e64 s8, s[24:25], s[22:23]
	s_barrier_signal -1
	s_barrier_wait -1
	s_and_b32 vcc_lo, exec_lo, s8
	s_cbranch_vccnz .LBB43_25
.LBB43_11:                              ; =>This Loop Header: Depth=1
                                        ;     Child Loop BB43_21 Depth 2
                                        ;     Child Loop BB43_24 Depth 2
	s_and_saveexec_b32 s8, s2
	s_cbranch_execz .LBB43_16
; %bb.12:                               ;   in Loop: Header=BB43_11 Depth=1
	s_lshl_b64 s[14:15], s[24:25], 2
	s_delay_alu instid0(SALU_CYCLE_1) | instskip(SKIP_3) | instid1(SALU_CYCLE_1)
	s_add_nc_u64 s[14:15], s[12:13], s[14:15]
	s_load_b32 s9, s[14:15], 0x0
	s_wait_kmcnt 0x0
	s_sub_co_i32 s9, s9, s21
	v_mad_u32 v28, s9, s7, v30
	s_delay_alu instid0(VALU_DEP_1) | instskip(NEXT) | instid1(VALU_DEP_1)
	v_ashrrev_i32_e32 v29, 31, v28
	v_mul_u64_e32 v[26:27], s[18:19], v[28:29]
	v_lshl_add_u64 v[28:29], v[28:29], 4, s[16:17]
	s_delay_alu instid0(VALU_DEP_2)
	v_lshl_add_u64 v[26:27], v[26:27], 4, s[16:17]
	s_and_saveexec_b32 s9, s3
	s_cbranch_execz .LBB43_14
; %bb.13:                               ;   in Loop: Header=BB43_11 Depth=1
	s_delay_alu instid0(VALU_DEP_2) | instskip(NEXT) | instid1(VALU_DEP_2)
	v_lshl_add_u64 v[38:39], v[10:11], 4, v[28:29]
	v_lshl_add_u64 v[40:41], v[18:19], 4, v[26:27]
	s_delay_alu instid0(VALU_DEP_1)
	v_dual_cndmask_b32 v39, v41, v39, s5 :: v_dual_cndmask_b32 v38, v40, v38, s5
	global_load_b128 v[38:41], v[38:39], off
	s_wait_loadcnt 0x0
	ds_store_2addr_b64 v33, v[38:39], v[40:41] offset1:1
.LBB43_14:                              ;   in Loop: Header=BB43_11 Depth=1
	s_or_b32 exec_lo, exec_lo, s9
	s_delay_alu instid0(SALU_CYCLE_1)
	s_and_b32 exec_lo, exec_lo, s4
	s_cbranch_execz .LBB43_16
; %bb.15:                               ;   in Loop: Header=BB43_11 Depth=1
	v_lshl_add_u64 v[28:29], v[22:23], 4, v[28:29]
	v_lshl_add_u64 v[26:27], v[0:1], 4, v[26:27]
	s_delay_alu instid0(VALU_DEP_1)
	v_dual_cndmask_b32 v27, v27, v29, s5 :: v_dual_cndmask_b32 v26, v26, v28, s5
	global_load_b128 v[26:29], v[26:27], off
	s_wait_loadcnt 0x0
	ds_store_2addr_b64 v35, v[26:27], v[28:29] offset1:1
.LBB43_16:                              ;   in Loop: Header=BB43_11 Depth=1
	s_or_b32 exec_lo, exec_lo, s8
	s_and_saveexec_b32 s8, s10
	s_cbranch_execz .LBB43_18
; %bb.17:                               ;   in Loop: Header=BB43_11 Depth=1
	s_mul_u64 s[14:15], s[24:25], s[26:27]
	s_delay_alu instid0(SALU_CYCLE_1)
	v_lshl_add_u64 v[26:27], s[14:15], 4, v[24:25]
	global_load_b128 v[26:29], v[26:27], off
	s_wait_loadcnt 0x0
	ds_store_2addr_b64 v34, v[26:27], v[28:29] offset1:1
.LBB43_18:                              ;   in Loop: Header=BB43_11 Depth=1
	s_or_b32 exec_lo, exec_lo, s8
	s_wait_loadcnt_dscnt 0x0
	s_barrier_signal -1
	s_barrier_wait -1
	s_and_saveexec_b32 s8, s2
	s_cbranch_execz .LBB43_10
; %bb.19:                               ;   in Loop: Header=BB43_11 Depth=1
	s_and_saveexec_b32 s9, s3
	s_cbranch_execz .LBB43_22
; %bb.20:                               ;   in Loop: Header=BB43_11 Depth=1
	v_dual_mov_b32 v26, v32 :: v_dual_mov_b32 v27, v31
	s_mov_b32 s14, s7
.LBB43_21:                              ;   Parent Loop BB43_11 Depth=1
                                        ; =>  This Inner Loop Header: Depth=2
	ds_load_b128 v[38:41], v26
	ds_load_b128 v[42:45], v27
	v_add_nc_u32_e32 v26, 16, v26
	s_add_co_i32 s14, s14, -1
	v_add_nc_u32_e32 v27, 16, v27
	s_cmp_lg_u32 s14, 0
	s_wait_dscnt 0x0
	v_fmac_f64_e32 v[20:21], v[38:39], v[42:43]
	v_fmac_f64_e32 v[12:13], v[40:41], v[42:43]
	s_delay_alu instid0(VALU_DEP_2) | instskip(NEXT) | instid1(VALU_DEP_2)
	v_fma_f64 v[20:21], -v[40:41], v[44:45], v[20:21]
	v_fmac_f64_e32 v[12:13], v[38:39], v[44:45]
	s_cbranch_scc1 .LBB43_21
.LBB43_22:                              ;   in Loop: Header=BB43_11 Depth=1
	s_or_b32 exec_lo, exec_lo, s9
	s_and_saveexec_b32 s9, s4
	s_cbranch_execz .LBB43_9
; %bb.23:                               ;   in Loop: Header=BB43_11 Depth=1
	v_dual_mov_b32 v26, v32 :: v_dual_mov_b32 v27, v36
	s_mov_b32 s14, s7
.LBB43_24:                              ;   Parent Loop BB43_11 Depth=1
                                        ; =>  This Inner Loop Header: Depth=2
	ds_load_b128 v[38:41], v26
	ds_load_b128 v[42:45], v27
	v_add_nc_u32_e32 v26, 16, v26
	s_add_co_i32 s14, s14, -1
	v_add_nc_u32_e32 v27, 16, v27
	s_cmp_lg_u32 s14, 0
	s_wait_dscnt 0x0
	v_fmac_f64_e32 v[16:17], v[38:39], v[42:43]
	v_fmac_f64_e32 v[14:15], v[40:41], v[42:43]
	s_delay_alu instid0(VALU_DEP_2) | instskip(NEXT) | instid1(VALU_DEP_2)
	v_fma_f64 v[16:17], -v[40:41], v[44:45], v[16:17]
	v_fmac_f64_e32 v[14:15], v[38:39], v[44:45]
	s_cbranch_scc1 .LBB43_24
	s_branch .LBB43_9
.LBB43_25:
	s_load_b64 s[4:5], s[0:1], 0x78
	s_and_b32 s2, s28, s2
	s_delay_alu instid0(SALU_CYCLE_1)
	s_and_b32 exec_lo, exec_lo, s2
	s_cbranch_execz .LBB43_48
; %bb.26:
	s_load_b64 s[2:3], s[0:1], 0x80
	v_mad_u32 v10, s7, s6, v30
	s_wait_loadcnt_dscnt 0x0
	v_cmp_neq_f64_e32 vcc_lo, 0, v[6:7]
	s_wait_xcnt 0x0
	v_cmp_neq_f64_e64 s0, 0, v[8:9]
	s_delay_alu instid0(VALU_DEP_3) | instskip(SKIP_1) | instid1(VALU_DEP_1)
	v_ashrrev_i32_e32 v11, 31, v10
	s_wait_kmcnt 0x0
	v_lshl_add_u64 v[22:23], v[10:11], 4, s[4:5]
	v_mul_u64_e32 v[24:25], s[2:3], v[10:11]
	s_or_b32 s0, vcc_lo, s0
	s_cmp_lg_u32 s20, 1
	s_cselect_b32 s1, -1, 0
	s_delay_alu instid0(VALU_DEP_1)
	v_lshl_add_u64 v[24:25], v[24:25], 4, s[4:5]
	s_mov_b32 s4, exec_lo
	v_cmpx_gt_i32_e64 s11, v18
	s_cbranch_execz .LBB43_37
; %bb.27:
	v_ashrrev_i32_e32 v19, 31, v18
	s_and_saveexec_b32 s5, s0
	s_delay_alu instid0(SALU_CYCLE_1)
	s_xor_b32 s5, exec_lo, s5
	s_cbranch_execz .LBB43_32
; %bb.28:
	s_and_b32 vcc_lo, exec_lo, s1
	s_mov_b32 s6, -1
	s_cbranch_vccz .LBB43_30
; %bb.29:
	v_lshl_add_u64 v[10:11], v[18:19], 4, v[24:25]
	v_mul_f64_e64 v[30:31], v[12:13], -v[4:5]
	v_mul_f64_e32 v[32:33], v[2:3], v[12:13]
	s_mov_b32 s6, 0
	global_load_b128 v[26:29], v[10:11], off
	v_fmac_f64_e32 v[30:31], v[2:3], v[20:21]
	v_fmac_f64_e32 v[32:33], v[4:5], v[20:21]
	s_wait_loadcnt 0x0
	s_delay_alu instid0(VALU_DEP_2) | instskip(NEXT) | instid1(VALU_DEP_2)
	v_fmac_f64_e32 v[30:31], v[6:7], v[26:27]
	v_fmac_f64_e32 v[32:33], v[8:9], v[26:27]
	s_delay_alu instid0(VALU_DEP_2) | instskip(NEXT) | instid1(VALU_DEP_2)
	v_fma_f64 v[30:31], -v[8:9], v[28:29], v[30:31]
	v_fmac_f64_e32 v[32:33], v[6:7], v[28:29]
	global_store_b128 v[10:11], v[30:33], off
.LBB43_30:
	s_and_not1_b32 vcc_lo, exec_lo, s6
	s_cbranch_vccnz .LBB43_32
; %bb.31:
	s_wait_xcnt 0x0
	v_mul_u64_e32 v[10:11], s[2:3], v[18:19]
	s_delay_alu instid0(VALU_DEP_1)
	v_lshl_add_u64 v[18:19], v[10:11], 4, v[22:23]
	v_mul_f64_e64 v[10:11], v[12:13], -v[4:5]
	v_mul_f64_e32 v[12:13], v[2:3], v[12:13]
	global_load_b128 v[26:29], v[18:19], off
	v_fmac_f64_e32 v[10:11], v[2:3], v[20:21]
	v_fmac_f64_e32 v[12:13], v[4:5], v[20:21]
                                        ; implicit-def: $vgpr20_vgpr21
	s_wait_loadcnt 0x0
	s_delay_alu instid0(VALU_DEP_2) | instskip(NEXT) | instid1(VALU_DEP_2)
	v_fmac_f64_e32 v[10:11], v[6:7], v[26:27]
	v_fmac_f64_e32 v[12:13], v[8:9], v[26:27]
	s_delay_alu instid0(VALU_DEP_2) | instskip(NEXT) | instid1(VALU_DEP_2)
	v_fma_f64 v[10:11], -v[8:9], v[28:29], v[10:11]
	v_fmac_f64_e32 v[12:13], v[6:7], v[28:29]
	global_store_b128 v[18:19], v[10:13], off
                                        ; implicit-def: $vgpr12_vgpr13
                                        ; implicit-def: $vgpr18
.LBB43_32:
	s_wait_xcnt 0x0
	s_and_not1_saveexec_b32 s5, s5
	s_cbranch_execz .LBB43_37
; %bb.33:
	v_mul_f64_e64 v[10:11], v[12:13], -v[4:5]
	v_mul_f64_e32 v[12:13], v[2:3], v[12:13]
	s_and_b32 vcc_lo, exec_lo, s1
	s_mov_b32 s5, -1
	s_delay_alu instid0(VALU_DEP_2) | instskip(NEXT) | instid1(VALU_DEP_2)
	v_fmac_f64_e32 v[10:11], v[2:3], v[20:21]
	v_fmac_f64_e32 v[12:13], v[4:5], v[20:21]
	s_cbranch_vccz .LBB43_35
; %bb.34:
	v_lshl_add_u64 v[20:21], v[18:19], 4, v[24:25]
	s_mov_b32 s5, 0
	global_store_b128 v[20:21], v[10:13], off
.LBB43_35:
	s_and_not1_b32 vcc_lo, exec_lo, s5
	s_cbranch_vccnz .LBB43_37
; %bb.36:
	v_mul_u64_e32 v[18:19], s[2:3], v[18:19]
	s_delay_alu instid0(VALU_DEP_1)
	v_lshl_add_u64 v[18:19], v[18:19], 4, v[22:23]
	global_store_b128 v[18:19], v[10:13], off
.LBB43_37:
	s_wait_xcnt 0x0
	s_or_b32 exec_lo, exec_lo, s4
	v_cmp_gt_i32_e32 vcc_lo, s11, v0
	s_and_b32 exec_lo, exec_lo, vcc_lo
	s_cbranch_execz .LBB43_48
; %bb.38:
	v_ashrrev_i32_e32 v1, 31, v0
	v_cndmask_b32_e64 v10, 0, 1, s1
	s_and_saveexec_b32 s1, s0
	s_delay_alu instid0(SALU_CYCLE_1)
	s_xor_b32 s0, exec_lo, s1
	s_cbranch_execz .LBB43_43
; %bb.39:
	s_delay_alu instid0(VALU_DEP_1)
	v_cmp_ne_u32_e32 vcc_lo, 1, v10
	s_mov_b32 s1, -1
	s_cbranch_vccnz .LBB43_41
; %bb.40:
	v_lshl_add_u64 v[24:25], v[0:1], 4, v[24:25]
	v_mul_f64_e64 v[18:19], v[14:15], -v[4:5]
	v_mul_f64_e32 v[20:21], v[2:3], v[14:15]
	s_mov_b32 s1, 0
	global_load_b128 v[10:13], v[24:25], off
	v_fmac_f64_e32 v[18:19], v[2:3], v[16:17]
	v_fmac_f64_e32 v[20:21], v[4:5], v[16:17]
	s_wait_loadcnt 0x0
	s_delay_alu instid0(VALU_DEP_2) | instskip(NEXT) | instid1(VALU_DEP_2)
	v_fmac_f64_e32 v[18:19], v[6:7], v[10:11]
	v_fmac_f64_e32 v[20:21], v[8:9], v[10:11]
	s_delay_alu instid0(VALU_DEP_2) | instskip(NEXT) | instid1(VALU_DEP_2)
	v_fma_f64 v[18:19], -v[8:9], v[12:13], v[18:19]
	v_fmac_f64_e32 v[20:21], v[6:7], v[12:13]
	global_store_b128 v[24:25], v[18:21], off
.LBB43_41:
	s_and_not1_b32 vcc_lo, exec_lo, s1
                                        ; implicit-def: $vgpr24_vgpr25
                                        ; implicit-def: $vgpr10
	s_cbranch_vccnz .LBB43_43
; %bb.42:
	v_mul_u64_e32 v[0:1], s[2:3], v[0:1]
	s_wait_xcnt 0x0
	v_mul_f64_e64 v[20:21], v[14:15], -v[4:5]
	v_mul_f64_e32 v[18:19], v[2:3], v[14:15]
                                        ; implicit-def: $vgpr24_vgpr25
                                        ; implicit-def: $vgpr14_vgpr15
	s_delay_alu instid0(VALU_DEP_3) | instskip(NEXT) | instid1(VALU_DEP_3)
	v_lshl_add_u64 v[0:1], v[0:1], 4, v[22:23]
	v_fmac_f64_e32 v[20:21], v[2:3], v[16:17]
	s_delay_alu instid0(VALU_DEP_3) | instskip(SKIP_4) | instid1(VALU_DEP_2)
	v_fmac_f64_e32 v[18:19], v[4:5], v[16:17]
                                        ; implicit-def: $vgpr22_vgpr23
                                        ; implicit-def: $vgpr4_vgpr5
	global_load_b128 v[10:13], v[0:1], off
	s_wait_loadcnt 0x0
	v_fmac_f64_e32 v[20:21], v[6:7], v[10:11]
	v_fmac_f64_e32 v[18:19], v[8:9], v[10:11]
                                        ; implicit-def: $vgpr10
	v_fma_f64 v[16:17], -v[8:9], v[12:13], v[20:21]
	s_delay_alu instid0(VALU_DEP_2)
	v_fmac_f64_e32 v[18:19], v[6:7], v[12:13]
	global_store_b128 v[0:1], v[16:19], off
                                        ; implicit-def: $vgpr0
                                        ; implicit-def: $vgpr16_vgpr17
.LBB43_43:
	s_wait_xcnt 0x0
	s_and_not1_saveexec_b32 s0, s0
	s_cbranch_execz .LBB43_48
; %bb.44:
	v_mul_f64_e64 v[6:7], v[14:15], -v[4:5]
	v_mul_f64_e32 v[8:9], v[2:3], v[14:15]
	v_cmp_ne_u32_e32 vcc_lo, 1, v10
	s_mov_b32 s0, -1
	s_delay_alu instid0(VALU_DEP_3) | instskip(NEXT) | instid1(VALU_DEP_3)
	v_fmac_f64_e32 v[6:7], v[2:3], v[16:17]
	v_fmac_f64_e32 v[8:9], v[4:5], v[16:17]
	s_cbranch_vccnz .LBB43_46
; %bb.45:
	v_lshl_add_u64 v[2:3], v[0:1], 4, v[24:25]
	s_mov_b32 s0, 0
	global_store_b128 v[2:3], v[6:9], off
.LBB43_46:
	s_and_not1_b32 vcc_lo, exec_lo, s0
	s_cbranch_vccnz .LBB43_48
; %bb.47:
	v_mul_u64_e32 v[0:1], s[2:3], v[0:1]
	s_delay_alu instid0(VALU_DEP_1)
	v_lshl_add_u64 v[0:1], v[0:1], 4, v[22:23]
	global_store_b128 v[0:1], v[6:9], off
.LBB43_48:
	s_endpgm
	.section	.rodata,"a",@progbits
	.p2align	6, 0x0
	.amdhsa_kernel _ZN9rocsparseL31bsrmm_large_blockdim_kernel_extILj32ELj32ELj2Eli21rocsparse_complex_numIdES2_S2_S2_EEvb20rocsparse_direction_T3_S4_llNS_24const_host_device_scalarIT7_EEPKT2_PKS4_PKT4_S4_PKT5_llS7_PT6_ll16rocsparse_order_21rocsparse_index_base_b
		.amdhsa_group_segment_fixed_size 49152
		.amdhsa_private_segment_fixed_size 0
		.amdhsa_kernarg_size 156
		.amdhsa_user_sgpr_count 2
		.amdhsa_user_sgpr_dispatch_ptr 0
		.amdhsa_user_sgpr_queue_ptr 0
		.amdhsa_user_sgpr_kernarg_segment_ptr 1
		.amdhsa_user_sgpr_dispatch_id 0
		.amdhsa_user_sgpr_kernarg_preload_length 0
		.amdhsa_user_sgpr_kernarg_preload_offset 0
		.amdhsa_user_sgpr_private_segment_size 0
		.amdhsa_wavefront_size32 1
		.amdhsa_uses_dynamic_stack 0
		.amdhsa_enable_private_segment 0
		.amdhsa_system_sgpr_workgroup_id_x 1
		.amdhsa_system_sgpr_workgroup_id_y 1
		.amdhsa_system_sgpr_workgroup_id_z 0
		.amdhsa_system_sgpr_workgroup_info 0
		.amdhsa_system_vgpr_workitem_id 1
		.amdhsa_next_free_vgpr 46
		.amdhsa_next_free_sgpr 29
		.amdhsa_named_barrier_count 0
		.amdhsa_reserve_vcc 1
		.amdhsa_float_round_mode_32 0
		.amdhsa_float_round_mode_16_64 0
		.amdhsa_float_denorm_mode_32 3
		.amdhsa_float_denorm_mode_16_64 3
		.amdhsa_fp16_overflow 0
		.amdhsa_memory_ordered 1
		.amdhsa_forward_progress 1
		.amdhsa_inst_pref_size 16
		.amdhsa_round_robin_scheduling 0
		.amdhsa_exception_fp_ieee_invalid_op 0
		.amdhsa_exception_fp_denorm_src 0
		.amdhsa_exception_fp_ieee_div_zero 0
		.amdhsa_exception_fp_ieee_overflow 0
		.amdhsa_exception_fp_ieee_underflow 0
		.amdhsa_exception_fp_ieee_inexact 0
		.amdhsa_exception_int_div_zero 0
	.end_amdhsa_kernel
	.section	.text._ZN9rocsparseL31bsrmm_large_blockdim_kernel_extILj32ELj32ELj2Eli21rocsparse_complex_numIdES2_S2_S2_EEvb20rocsparse_direction_T3_S4_llNS_24const_host_device_scalarIT7_EEPKT2_PKS4_PKT4_S4_PKT5_llS7_PT6_ll16rocsparse_order_21rocsparse_index_base_b,"axG",@progbits,_ZN9rocsparseL31bsrmm_large_blockdim_kernel_extILj32ELj32ELj2Eli21rocsparse_complex_numIdES2_S2_S2_EEvb20rocsparse_direction_T3_S4_llNS_24const_host_device_scalarIT7_EEPKT2_PKS4_PKT4_S4_PKT5_llS7_PT6_ll16rocsparse_order_21rocsparse_index_base_b,comdat
.Lfunc_end43:
	.size	_ZN9rocsparseL31bsrmm_large_blockdim_kernel_extILj32ELj32ELj2Eli21rocsparse_complex_numIdES2_S2_S2_EEvb20rocsparse_direction_T3_S4_llNS_24const_host_device_scalarIT7_EEPKT2_PKS4_PKT4_S4_PKT5_llS7_PT6_ll16rocsparse_order_21rocsparse_index_base_b, .Lfunc_end43-_ZN9rocsparseL31bsrmm_large_blockdim_kernel_extILj32ELj32ELj2Eli21rocsparse_complex_numIdES2_S2_S2_EEvb20rocsparse_direction_T3_S4_llNS_24const_host_device_scalarIT7_EEPKT2_PKS4_PKT4_S4_PKT5_llS7_PT6_ll16rocsparse_order_21rocsparse_index_base_b
                                        ; -- End function
	.set _ZN9rocsparseL31bsrmm_large_blockdim_kernel_extILj32ELj32ELj2Eli21rocsparse_complex_numIdES2_S2_S2_EEvb20rocsparse_direction_T3_S4_llNS_24const_host_device_scalarIT7_EEPKT2_PKS4_PKT4_S4_PKT5_llS7_PT6_ll16rocsparse_order_21rocsparse_index_base_b.num_vgpr, 46
	.set _ZN9rocsparseL31bsrmm_large_blockdim_kernel_extILj32ELj32ELj2Eli21rocsparse_complex_numIdES2_S2_S2_EEvb20rocsparse_direction_T3_S4_llNS_24const_host_device_scalarIT7_EEPKT2_PKS4_PKT4_S4_PKT5_llS7_PT6_ll16rocsparse_order_21rocsparse_index_base_b.num_agpr, 0
	.set _ZN9rocsparseL31bsrmm_large_blockdim_kernel_extILj32ELj32ELj2Eli21rocsparse_complex_numIdES2_S2_S2_EEvb20rocsparse_direction_T3_S4_llNS_24const_host_device_scalarIT7_EEPKT2_PKS4_PKT4_S4_PKT5_llS7_PT6_ll16rocsparse_order_21rocsparse_index_base_b.numbered_sgpr, 29
	.set _ZN9rocsparseL31bsrmm_large_blockdim_kernel_extILj32ELj32ELj2Eli21rocsparse_complex_numIdES2_S2_S2_EEvb20rocsparse_direction_T3_S4_llNS_24const_host_device_scalarIT7_EEPKT2_PKS4_PKT4_S4_PKT5_llS7_PT6_ll16rocsparse_order_21rocsparse_index_base_b.num_named_barrier, 0
	.set _ZN9rocsparseL31bsrmm_large_blockdim_kernel_extILj32ELj32ELj2Eli21rocsparse_complex_numIdES2_S2_S2_EEvb20rocsparse_direction_T3_S4_llNS_24const_host_device_scalarIT7_EEPKT2_PKS4_PKT4_S4_PKT5_llS7_PT6_ll16rocsparse_order_21rocsparse_index_base_b.private_seg_size, 0
	.set _ZN9rocsparseL31bsrmm_large_blockdim_kernel_extILj32ELj32ELj2Eli21rocsparse_complex_numIdES2_S2_S2_EEvb20rocsparse_direction_T3_S4_llNS_24const_host_device_scalarIT7_EEPKT2_PKS4_PKT4_S4_PKT5_llS7_PT6_ll16rocsparse_order_21rocsparse_index_base_b.uses_vcc, 1
	.set _ZN9rocsparseL31bsrmm_large_blockdim_kernel_extILj32ELj32ELj2Eli21rocsparse_complex_numIdES2_S2_S2_EEvb20rocsparse_direction_T3_S4_llNS_24const_host_device_scalarIT7_EEPKT2_PKS4_PKT4_S4_PKT5_llS7_PT6_ll16rocsparse_order_21rocsparse_index_base_b.uses_flat_scratch, 0
	.set _ZN9rocsparseL31bsrmm_large_blockdim_kernel_extILj32ELj32ELj2Eli21rocsparse_complex_numIdES2_S2_S2_EEvb20rocsparse_direction_T3_S4_llNS_24const_host_device_scalarIT7_EEPKT2_PKS4_PKT4_S4_PKT5_llS7_PT6_ll16rocsparse_order_21rocsparse_index_base_b.has_dyn_sized_stack, 0
	.set _ZN9rocsparseL31bsrmm_large_blockdim_kernel_extILj32ELj32ELj2Eli21rocsparse_complex_numIdES2_S2_S2_EEvb20rocsparse_direction_T3_S4_llNS_24const_host_device_scalarIT7_EEPKT2_PKS4_PKT4_S4_PKT5_llS7_PT6_ll16rocsparse_order_21rocsparse_index_base_b.has_recursion, 0
	.set _ZN9rocsparseL31bsrmm_large_blockdim_kernel_extILj32ELj32ELj2Eli21rocsparse_complex_numIdES2_S2_S2_EEvb20rocsparse_direction_T3_S4_llNS_24const_host_device_scalarIT7_EEPKT2_PKS4_PKT4_S4_PKT5_llS7_PT6_ll16rocsparse_order_21rocsparse_index_base_b.has_indirect_call, 0
	.section	.AMDGPU.csdata,"",@progbits
; Kernel info:
; codeLenInByte = 2040
; TotalNumSgprs: 31
; NumVgprs: 46
; ScratchSize: 0
; MemoryBound: 0
; FloatMode: 240
; IeeeMode: 1
; LDSByteSize: 49152 bytes/workgroup (compile time only)
; SGPRBlocks: 0
; VGPRBlocks: 2
; NumSGPRsForWavesPerEU: 31
; NumVGPRsForWavesPerEU: 46
; NamedBarCnt: 0
; Occupancy: 16
; WaveLimiterHint : 0
; COMPUTE_PGM_RSRC2:SCRATCH_EN: 0
; COMPUTE_PGM_RSRC2:USER_SGPR: 2
; COMPUTE_PGM_RSRC2:TRAP_HANDLER: 0
; COMPUTE_PGM_RSRC2:TGID_X_EN: 1
; COMPUTE_PGM_RSRC2:TGID_Y_EN: 1
; COMPUTE_PGM_RSRC2:TGID_Z_EN: 0
; COMPUTE_PGM_RSRC2:TIDIG_COMP_CNT: 1
	.section	.text._ZN9rocsparseL31bsrmm_large_blockdim_kernel_extILj8ELj8ELj2Ell21rocsparse_complex_numIdES2_S2_S2_EEvb20rocsparse_direction_T3_S4_llNS_24const_host_device_scalarIT7_EEPKT2_PKS4_PKT4_S4_PKT5_llS7_PT6_ll16rocsparse_order_21rocsparse_index_base_b,"axG",@progbits,_ZN9rocsparseL31bsrmm_large_blockdim_kernel_extILj8ELj8ELj2Ell21rocsparse_complex_numIdES2_S2_S2_EEvb20rocsparse_direction_T3_S4_llNS_24const_host_device_scalarIT7_EEPKT2_PKS4_PKT4_S4_PKT5_llS7_PT6_ll16rocsparse_order_21rocsparse_index_base_b,comdat
	.globl	_ZN9rocsparseL31bsrmm_large_blockdim_kernel_extILj8ELj8ELj2Ell21rocsparse_complex_numIdES2_S2_S2_EEvb20rocsparse_direction_T3_S4_llNS_24const_host_device_scalarIT7_EEPKT2_PKS4_PKT4_S4_PKT5_llS7_PT6_ll16rocsparse_order_21rocsparse_index_base_b ; -- Begin function _ZN9rocsparseL31bsrmm_large_blockdim_kernel_extILj8ELj8ELj2Ell21rocsparse_complex_numIdES2_S2_S2_EEvb20rocsparse_direction_T3_S4_llNS_24const_host_device_scalarIT7_EEPKT2_PKS4_PKT4_S4_PKT5_llS7_PT6_ll16rocsparse_order_21rocsparse_index_base_b
	.p2align	8
	.type	_ZN9rocsparseL31bsrmm_large_blockdim_kernel_extILj8ELj8ELj2Ell21rocsparse_complex_numIdES2_S2_S2_EEvb20rocsparse_direction_T3_S4_llNS_24const_host_device_scalarIT7_EEPKT2_PKS4_PKT4_S4_PKT5_llS7_PT6_ll16rocsparse_order_21rocsparse_index_base_b,@function
_ZN9rocsparseL31bsrmm_large_blockdim_kernel_extILj8ELj8ELj2Ell21rocsparse_complex_numIdES2_S2_S2_EEvb20rocsparse_direction_T3_S4_llNS_24const_host_device_scalarIT7_EEPKT2_PKS4_PKT4_S4_PKT5_llS7_PT6_ll16rocsparse_order_21rocsparse_index_base_b: ; @_ZN9rocsparseL31bsrmm_large_blockdim_kernel_extILj8ELj8ELj2Ell21rocsparse_complex_numIdES2_S2_S2_EEvb20rocsparse_direction_T3_S4_llNS_24const_host_device_scalarIT7_EEPKT2_PKS4_PKT4_S4_PKT5_llS7_PT6_ll16rocsparse_order_21rocsparse_index_base_b
; %bb.0:
	s_clause 0x1
	s_load_b96 s[16:18], s[0:1], 0x98
	s_load_b64 s[2:3], s[0:1], 0x28
	v_mov_b32_e32 v1, 0
	s_add_nc_u64 s[4:5], s[0:1], 40
	s_load_b64 s[6:7], s[0:1], 0x70
	s_wait_kmcnt 0x0
	s_bitcmp1_b32 s18, 0
	s_cselect_b32 s3, s5, s3
	s_cselect_b32 s2, s4, s2
	flat_load_b128 v[2:5], v1, s[2:3]
	s_wait_xcnt 0x0
	s_add_nc_u64 s[2:3], s[0:1], 0x70
	s_delay_alu instid0(SALU_CYCLE_1)
	s_cselect_b32 s3, s3, s7
	s_cselect_b32 s2, s2, s6
	flat_load_b128 v[6:9], v1, s[2:3]
	s_wait_loadcnt_dscnt 0x101
	v_cmp_eq_f64_e32 vcc_lo, 0, v[2:3]
	s_wait_xcnt 0x0
	v_cmp_eq_f64_e64 s2, 0, v[4:5]
	s_and_b32 s4, vcc_lo, s2
	s_mov_b32 s2, -1
	s_and_saveexec_b32 s3, s4
	s_cbranch_execz .LBB44_2
; %bb.1:
	s_wait_loadcnt_dscnt 0x0
	v_cmp_neq_f64_e32 vcc_lo, 1.0, v[6:7]
	v_cmp_neq_f64_e64 s2, 0, v[8:9]
	s_or_b32 s2, vcc_lo, s2
	s_delay_alu instid0(SALU_CYCLE_1)
	s_or_not1_b32 s2, s2, exec_lo
.LBB44_2:
	s_or_b32 exec_lo, exec_lo, s3
	s_and_saveexec_b32 s3, s2
	s_cbranch_execz .LBB44_48
; %bb.3:
	s_clause 0x1
	s_load_b128 s[4:7], s[0:1], 0x8
	s_load_b64 s[2:3], s[0:1], 0x38
	s_bfe_u32 s8, ttmp6, 0x4000c
	s_and_b32 s9, ttmp6, 15
	s_add_co_i32 s8, s8, 1
	s_getreg_b32 s10, hwreg(HW_REG_IB_STS2, 6, 4)
	s_mul_i32 s8, ttmp9, s8
	s_mov_b64 s[20:21], 0
	s_add_co_i32 s9, s9, s8
	s_cmp_eq_u32 s10, 0
	s_mov_b64 s[22:23], 0
	s_cselect_b32 s18, ttmp9, s9
	s_mov_b32 s9, 0
	s_ashr_i32 s19, s18, 31
	s_wait_kmcnt 0x0
	v_cmp_le_i64_e64 s8, s[4:5], s[18:19]
	v_cmp_gt_i64_e64 s33, s[4:5], s[18:19]
	s_and_b32 vcc_lo, exec_lo, s8
	s_cbranch_vccnz .LBB44_5
; %bb.4:
	s_lshl_b64 s[4:5], s[18:19], 3
	s_mov_b32 s8, s17
	s_add_nc_u64 s[4:5], s[2:3], s[4:5]
	s_load_b64 s[4:5], s[4:5], 0x0
	s_wait_kmcnt 0x0
	s_sub_nc_u64 s[22:23], s[4:5], s[8:9]
.LBB44_5:
	s_and_not1_b32 vcc_lo, exec_lo, s33
	s_cbranch_vccnz .LBB44_7
; %bb.6:
	s_lshl_b64 s[4:5], s[18:19], 3
	s_delay_alu instid0(SALU_CYCLE_1)
	s_add_nc_u64 s[2:3], s[2:3], s[4:5]
	s_mov_b32 s5, 0
	s_load_b64 s[2:3], s[2:3], 0x8
	s_mov_b32 s4, s17
	s_wait_kmcnt 0x0
	s_sub_nc_u64 s[20:21], s[2:3], s[4:5]
.LBB44_7:
	s_bfe_u32 s2, ttmp6, 0x40010
	s_clause 0x1
	s_load_b64 s[24:25], s[0:1], 0x50
	s_load_b64 s[26:27], s[0:1], 0x80
	s_add_co_i32 s2, s2, 1
	s_bfe_u32 s3, ttmp6, 0x40004
	s_mul_i32 s2, ttmp7, s2
	v_bfe_u32 v26, v0, 10, 10
	s_add_co_i32 s3, s3, s2
	s_cmp_eq_u32 s10, 0
	v_and_b32_e32 v10, 0x3ff, v0
	s_cselect_b32 s2, ttmp7, s3
	v_cmp_ge_i64_e64 s5, s[22:23], s[20:21]
	v_lshl_add_u32 v18, s2, 4, v26
	v_mov_b32_e32 v19, 0
	v_mov_b64_e32 v[20:21], 0
	v_mov_b64_e32 v[12:13], 0
	;; [unrolled: 1-line block ×3, first 2 shown]
	s_delay_alu instid0(VALU_DEP_4)
	v_dual_mov_b32 v1, v19 :: v_dual_add_nc_u32 v0, 8, v18
	v_mov_b32_e32 v11, v19
	v_cmp_gt_i64_e64 s3, s[6:7], v[18:19]
	v_mov_b64_e32 v[16:17], 0
	s_and_b32 vcc_lo, exec_lo, s5
	v_cmp_gt_i64_e64 s4, s[6:7], v[0:1]
	s_wait_kmcnt 0x0
	v_cmp_gt_i64_e64 s2, s[24:25], v[10:11]
	s_mov_b32 s29, 0
	s_cbranch_vccnz .LBB44_25
; %bb.8:
	v_dual_mov_b32 v27, v19 :: v_dual_lshlrev_b32 v32, 4, v26
	s_load_b128 s[8:11], s[0:1], 0x58
	v_mul_u64_e32 v[28:29], s[24:25], v[10:11]
	s_clause 0x1
	s_load_b128 s[12:15], s[0:1], 0x40
	s_load_b64 s[34:35], s[0:1], 0x0
	v_mul_u64_e32 v[30:31], s[24:25], v[26:27]
	v_cmp_gt_i64_e32 vcc_lo, s[24:25], v[26:27]
	v_dual_mov_b32 v41, v19 :: v_dual_lshlrev_b32 v40, 4, v10
	v_dual_mov_b32 v33, v19 :: v_dual_lshlrev_b32 v34, 7, v26
	v_lshl_add_u32 v35, v10, 7, 0x800
	v_cmp_gt_i64_e64 s36, s[24:25], 0
	s_and_b32 s19, s2, vcc_lo
	v_mov_b64_e32 v[16:17], 0
	v_mov_b64_e32 v[14:15], 0
	;; [unrolled: 1-line block ×4, first 2 shown]
	v_add_nc_u32_e32 v39, 0x400, v34
	s_mul_u64 s[30:31], s[24:25], s[24:25]
	s_mov_b32 s28, s17
	s_wait_kmcnt 0x0
	v_mul_u64_e32 v[22:23], s[10:11], v[18:19]
	v_mul_u64_e32 v[24:25], s[10:11], v[0:1]
	s_bitcmp1_b32 s34, 0
	s_cselect_b32 s5, -1, 0
	s_cmp_eq_u32 s35, 0
	s_cselect_b32 vcc_lo, -1, 0
	s_and_b32 s17, s3, s36
	s_and_b32 s34, s4, s36
	v_lshl_add_u64 v[26:27], v[28:29], 4, s[14:15]
	v_lshl_add_u64 v[28:29], v[30:31], 4, s[14:15]
	s_delay_alu instid0(VALU_DEP_2) | instskip(SKIP_1) | instid1(VALU_DEP_3)
	v_add_nc_u64_e32 v[30:31], v[26:27], v[32:33]
	v_add_nc_u64_e32 v[26:27], s[8:9], v[40:41]
	;; [unrolled: 1-line block ×3, first 2 shown]
	v_add_nc_u32_e32 v36, v34, v40
	s_delay_alu instid0(VALU_DEP_2) | instskip(NEXT) | instid1(VALU_DEP_2)
	v_dual_cndmask_b32 v28, v28, v30 :: v_dual_add_nc_u32 v37, v35, v32
	v_dual_cndmask_b32 v29, v29, v31 :: v_dual_add_nc_u32 v38, 0x400, v36
	s_branch .LBB44_11
.LBB44_9:                               ;   in Loop: Header=BB44_11 Depth=1
	s_or_b32 exec_lo, exec_lo, s36
.LBB44_10:                              ;   in Loop: Header=BB44_11 Depth=1
	s_delay_alu instid0(SALU_CYCLE_1) | instskip(SKIP_1) | instid1(SALU_CYCLE_1)
	s_or_b32 exec_lo, exec_lo, s35
	s_add_nc_u64 s[22:23], s[22:23], 1
	v_cmp_ge_i64_e64 s14, s[22:23], s[20:21]
	s_barrier_signal -1
	s_barrier_wait -1
	s_and_b32 vcc_lo, exec_lo, s14
	s_cbranch_vccnz .LBB44_25
.LBB44_11:                              ; =>This Loop Header: Depth=1
                                        ;     Child Loop BB44_21 Depth 2
                                        ;     Child Loop BB44_24 Depth 2
	s_and_saveexec_b32 s14, s2
	s_cbranch_execz .LBB44_16
; %bb.12:                               ;   in Loop: Header=BB44_11 Depth=1
	s_lshl_b64 s[36:37], s[22:23], 3
	s_delay_alu instid0(SALU_CYCLE_1) | instskip(SKIP_3) | instid1(SALU_CYCLE_1)
	s_add_nc_u64 s[36:37], s[12:13], s[36:37]
	s_load_b64 s[36:37], s[36:37], 0x0
	s_wait_kmcnt 0x0
	s_sub_nc_u64 s[36:37], s[36:37], s[28:29]
	s_mul_u64 s[36:37], s[36:37], s[24:25]
	s_delay_alu instid0(SALU_CYCLE_1) | instskip(SKIP_1) | instid1(VALU_DEP_2)
	v_add_nc_u64_e32 v[30:31], s[36:37], v[10:11]
	v_lshl_add_u64 v[32:33], s[36:37], 4, v[26:27]
	v_mul_u64_e32 v[30:31], s[10:11], v[30:31]
	s_delay_alu instid0(VALU_DEP_1)
	v_lshl_add_u64 v[30:31], v[30:31], 4, s[8:9]
	s_and_saveexec_b32 s15, s3
	s_cbranch_execz .LBB44_14
; %bb.13:                               ;   in Loop: Header=BB44_11 Depth=1
	v_lshl_add_u64 v[40:41], v[22:23], 4, v[32:33]
	s_delay_alu instid0(VALU_DEP_2) | instskip(NEXT) | instid1(VALU_DEP_1)
	v_lshl_add_u64 v[42:43], v[18:19], 4, v[30:31]
	v_dual_cndmask_b32 v41, v43, v41, s5 :: v_dual_cndmask_b32 v40, v42, v40, s5
	global_load_b128 v[40:43], v[40:41], off
	s_wait_loadcnt 0x0
	ds_store_2addr_b64 v36, v[40:41], v[42:43] offset1:1
.LBB44_14:                              ;   in Loop: Header=BB44_11 Depth=1
	s_or_b32 exec_lo, exec_lo, s15
	s_delay_alu instid0(SALU_CYCLE_1)
	s_and_b32 exec_lo, exec_lo, s4
	s_cbranch_execz .LBB44_16
; %bb.15:                               ;   in Loop: Header=BB44_11 Depth=1
	v_lshl_add_u64 v[32:33], v[24:25], 4, v[32:33]
	v_lshl_add_u64 v[30:31], v[0:1], 4, v[30:31]
	s_delay_alu instid0(VALU_DEP_1)
	v_dual_cndmask_b32 v31, v31, v33, s5 :: v_dual_cndmask_b32 v30, v30, v32, s5
	global_load_b128 v[30:33], v[30:31], off
	s_wait_loadcnt 0x0
	ds_store_2addr_b64 v38, v[30:31], v[32:33] offset1:1
.LBB44_16:                              ;   in Loop: Header=BB44_11 Depth=1
	s_or_b32 exec_lo, exec_lo, s14
	s_and_saveexec_b32 s14, s19
	s_cbranch_execz .LBB44_18
; %bb.17:                               ;   in Loop: Header=BB44_11 Depth=1
	s_mul_u64 s[36:37], s[30:31], s[22:23]
	s_delay_alu instid0(SALU_CYCLE_1)
	v_lshl_add_u64 v[30:31], s[36:37], 4, v[28:29]
	global_load_b128 v[30:33], v[30:31], off
	s_wait_loadcnt 0x0
	ds_store_2addr_b64 v37, v[30:31], v[32:33] offset1:1
.LBB44_18:                              ;   in Loop: Header=BB44_11 Depth=1
	s_or_b32 exec_lo, exec_lo, s14
	s_wait_loadcnt_dscnt 0x0
	s_barrier_signal -1
	s_barrier_wait -1
	s_and_saveexec_b32 s35, s2
	s_cbranch_execz .LBB44_10
; %bb.19:                               ;   in Loop: Header=BB44_11 Depth=1
	s_and_saveexec_b32 s36, s17
	s_cbranch_execz .LBB44_22
; %bb.20:                               ;   in Loop: Header=BB44_11 Depth=1
	v_dual_mov_b32 v30, v35 :: v_dual_mov_b32 v31, v34
	s_mov_b64 s[14:15], s[24:25]
.LBB44_21:                              ;   Parent Loop BB44_11 Depth=1
                                        ; =>  This Inner Loop Header: Depth=2
	ds_load_b128 v[40:43], v30
	ds_load_b128 v[44:47], v31
	v_dual_add_nc_u32 v31, 16, v31 :: v_dual_add_nc_u32 v30, 16, v30
	s_add_nc_u64 s[14:15], s[14:15], -1
	s_delay_alu instid0(SALU_CYCLE_1) | instskip(SKIP_3) | instid1(VALU_DEP_2)
	s_cmp_lg_u64 s[14:15], 0
	s_wait_dscnt 0x0
	v_fmac_f64_e32 v[20:21], v[40:41], v[44:45]
	v_fmac_f64_e32 v[12:13], v[42:43], v[44:45]
	v_fma_f64 v[20:21], -v[42:43], v[46:47], v[20:21]
	s_delay_alu instid0(VALU_DEP_2)
	v_fmac_f64_e32 v[12:13], v[40:41], v[46:47]
	s_cbranch_scc1 .LBB44_21
.LBB44_22:                              ;   in Loop: Header=BB44_11 Depth=1
	s_or_b32 exec_lo, exec_lo, s36
	s_and_saveexec_b32 s36, s34
	s_cbranch_execz .LBB44_9
; %bb.23:                               ;   in Loop: Header=BB44_11 Depth=1
	v_dual_mov_b32 v30, v35 :: v_dual_mov_b32 v31, v39
	s_mov_b64 s[14:15], s[24:25]
.LBB44_24:                              ;   Parent Loop BB44_11 Depth=1
                                        ; =>  This Inner Loop Header: Depth=2
	ds_load_b128 v[40:43], v30
	ds_load_b128 v[44:47], v31
	v_dual_add_nc_u32 v31, 16, v31 :: v_dual_add_nc_u32 v30, 16, v30
	s_add_nc_u64 s[14:15], s[14:15], -1
	s_delay_alu instid0(SALU_CYCLE_1) | instskip(SKIP_3) | instid1(VALU_DEP_2)
	s_cmp_lg_u64 s[14:15], 0
	s_wait_dscnt 0x0
	v_fmac_f64_e32 v[14:15], v[40:41], v[44:45]
	v_fmac_f64_e32 v[16:17], v[42:43], v[44:45]
	v_fma_f64 v[14:15], -v[42:43], v[46:47], v[14:15]
	s_delay_alu instid0(VALU_DEP_2)
	v_fmac_f64_e32 v[16:17], v[40:41], v[46:47]
	s_cbranch_scc1 .LBB44_24
	s_branch .LBB44_9
.LBB44_25:
	s_and_b32 s2, s33, s2
	s_delay_alu instid0(SALU_CYCLE_1)
	s_and_b32 exec_lo, exec_lo, s2
	s_cbranch_execz .LBB44_48
; %bb.26:
	v_mad_nc_u64_u32 v[10:11], s24, s18, v[10:11]
	s_load_b64 s[2:3], s[0:1], 0x88
	s_wait_loadcnt_dscnt 0x0
	v_cmp_neq_f64_e32 vcc_lo, 0, v[6:7]
	s_wait_xcnt 0x0
	v_cmp_neq_f64_e64 s0, 0, v[8:9]
	s_mov_b32 s5, exec_lo
	v_mad_u32 v11, s25, s18, v11
	s_wait_kmcnt 0x0
	s_delay_alu instid0(VALU_DEP_1) | instskip(SKIP_3) | instid1(VALU_DEP_1)
	v_mul_u64_e32 v[22:23], s[2:3], v[10:11]
	s_or_b32 s0, vcc_lo, s0
	s_cmp_lg_u32 s16, 1
	s_cselect_b32 s4, -1, 0
	v_lshl_add_u64 v[24:25], v[22:23], 4, s[26:27]
	v_lshl_add_u64 v[22:23], v[10:11], 4, s[26:27]
	v_cmpx_gt_i64_e64 s[6:7], v[18:19]
	s_cbranch_execz .LBB44_37
; %bb.27:
	s_and_saveexec_b32 s1, s0
	s_delay_alu instid0(SALU_CYCLE_1)
	s_xor_b32 s1, exec_lo, s1
	s_cbranch_execz .LBB44_32
; %bb.28:
	s_and_b32 vcc_lo, exec_lo, s4
	s_mov_b32 s8, -1
	s_cbranch_vccz .LBB44_30
; %bb.29:
	v_lshl_add_u64 v[10:11], v[18:19], 4, v[24:25]
	v_mul_f64_e64 v[30:31], v[12:13], -v[4:5]
	v_mul_f64_e32 v[32:33], v[2:3], v[12:13]
	s_mov_b32 s8, 0
	global_load_b128 v[26:29], v[10:11], off
	v_fmac_f64_e32 v[30:31], v[2:3], v[20:21]
	v_fmac_f64_e32 v[32:33], v[4:5], v[20:21]
	s_wait_loadcnt 0x0
	s_delay_alu instid0(VALU_DEP_2) | instskip(NEXT) | instid1(VALU_DEP_2)
	v_fmac_f64_e32 v[30:31], v[6:7], v[26:27]
	v_fmac_f64_e32 v[32:33], v[8:9], v[26:27]
	s_delay_alu instid0(VALU_DEP_2) | instskip(NEXT) | instid1(VALU_DEP_2)
	v_fma_f64 v[30:31], -v[8:9], v[28:29], v[30:31]
	v_fmac_f64_e32 v[32:33], v[6:7], v[28:29]
	global_store_b128 v[10:11], v[30:33], off
.LBB44_30:
	s_and_not1_b32 vcc_lo, exec_lo, s8
	s_cbranch_vccnz .LBB44_32
; %bb.31:
	s_wait_xcnt 0x0
	v_mul_u64_e32 v[10:11], s[2:3], v[18:19]
	s_delay_alu instid0(VALU_DEP_1)
	v_lshl_add_u64 v[18:19], v[10:11], 4, v[22:23]
	v_mul_f64_e64 v[10:11], v[12:13], -v[4:5]
	v_mul_f64_e32 v[12:13], v[2:3], v[12:13]
	global_load_b128 v[26:29], v[18:19], off
	v_fmac_f64_e32 v[10:11], v[2:3], v[20:21]
	v_fmac_f64_e32 v[12:13], v[4:5], v[20:21]
                                        ; implicit-def: $vgpr20_vgpr21
	s_wait_loadcnt 0x0
	s_delay_alu instid0(VALU_DEP_2) | instskip(NEXT) | instid1(VALU_DEP_2)
	v_fmac_f64_e32 v[10:11], v[6:7], v[26:27]
	v_fmac_f64_e32 v[12:13], v[8:9], v[26:27]
	s_delay_alu instid0(VALU_DEP_2) | instskip(NEXT) | instid1(VALU_DEP_2)
	v_fma_f64 v[10:11], -v[8:9], v[28:29], v[10:11]
	v_fmac_f64_e32 v[12:13], v[6:7], v[28:29]
	global_store_b128 v[18:19], v[10:13], off
                                        ; implicit-def: $vgpr18_vgpr19
                                        ; implicit-def: $vgpr12_vgpr13
.LBB44_32:
	s_wait_xcnt 0x0
	s_and_not1_saveexec_b32 s1, s1
	s_cbranch_execz .LBB44_37
; %bb.33:
	v_mul_f64_e64 v[10:11], v[12:13], -v[4:5]
	v_mul_f64_e32 v[12:13], v[2:3], v[12:13]
	s_and_b32 vcc_lo, exec_lo, s4
	s_mov_b32 s1, -1
	s_delay_alu instid0(VALU_DEP_2) | instskip(NEXT) | instid1(VALU_DEP_2)
	v_fmac_f64_e32 v[10:11], v[2:3], v[20:21]
	v_fmac_f64_e32 v[12:13], v[4:5], v[20:21]
	s_cbranch_vccz .LBB44_35
; %bb.34:
	v_lshl_add_u64 v[20:21], v[18:19], 4, v[24:25]
	s_mov_b32 s1, 0
	global_store_b128 v[20:21], v[10:13], off
.LBB44_35:
	s_and_not1_b32 vcc_lo, exec_lo, s1
	s_cbranch_vccnz .LBB44_37
; %bb.36:
	v_mul_u64_e32 v[18:19], s[2:3], v[18:19]
	s_delay_alu instid0(VALU_DEP_1)
	v_lshl_add_u64 v[18:19], v[18:19], 4, v[22:23]
	global_store_b128 v[18:19], v[10:13], off
.LBB44_37:
	s_wait_xcnt 0x0
	s_or_b32 exec_lo, exec_lo, s5
	v_cmp_gt_i64_e32 vcc_lo, s[6:7], v[0:1]
	s_and_b32 exec_lo, exec_lo, vcc_lo
	s_cbranch_execz .LBB44_48
; %bb.38:
	v_cndmask_b32_e64 v10, 0, 1, s4
	s_and_saveexec_b32 s1, s0
	s_delay_alu instid0(SALU_CYCLE_1)
	s_xor_b32 s0, exec_lo, s1
	s_cbranch_execz .LBB44_43
; %bb.39:
	s_delay_alu instid0(VALU_DEP_1)
	v_cmp_ne_u32_e32 vcc_lo, 1, v10
	s_mov_b32 s1, -1
	s_cbranch_vccnz .LBB44_41
; %bb.40:
	v_lshl_add_u64 v[24:25], v[0:1], 4, v[24:25]
	v_mul_f64_e64 v[18:19], v[16:17], -v[4:5]
	v_mul_f64_e32 v[20:21], v[2:3], v[16:17]
	s_mov_b32 s1, 0
	global_load_b128 v[10:13], v[24:25], off
	v_fmac_f64_e32 v[18:19], v[2:3], v[14:15]
	v_fmac_f64_e32 v[20:21], v[4:5], v[14:15]
	s_wait_loadcnt 0x0
	s_delay_alu instid0(VALU_DEP_2) | instskip(NEXT) | instid1(VALU_DEP_2)
	v_fmac_f64_e32 v[18:19], v[6:7], v[10:11]
	v_fmac_f64_e32 v[20:21], v[8:9], v[10:11]
	s_delay_alu instid0(VALU_DEP_2) | instskip(NEXT) | instid1(VALU_DEP_2)
	v_fma_f64 v[18:19], -v[8:9], v[12:13], v[18:19]
	v_fmac_f64_e32 v[20:21], v[6:7], v[12:13]
	global_store_b128 v[24:25], v[18:21], off
.LBB44_41:
	s_and_not1_b32 vcc_lo, exec_lo, s1
                                        ; implicit-def: $vgpr10
                                        ; implicit-def: $vgpr24_vgpr25
	s_cbranch_vccnz .LBB44_43
; %bb.42:
	v_mul_u64_e32 v[0:1], s[2:3], v[0:1]
	s_wait_xcnt 0x0
	v_mul_f64_e64 v[18:19], v[16:17], -v[4:5]
	v_mul_f64_e32 v[16:17], v[2:3], v[16:17]
                                        ; implicit-def: $vgpr24_vgpr25
	s_delay_alu instid0(VALU_DEP_3) | instskip(NEXT) | instid1(VALU_DEP_3)
	v_lshl_add_u64 v[0:1], v[0:1], 4, v[22:23]
	v_fmac_f64_e32 v[18:19], v[2:3], v[14:15]
	s_delay_alu instid0(VALU_DEP_3) | instskip(SKIP_4) | instid1(VALU_DEP_2)
	v_fmac_f64_e32 v[16:17], v[4:5], v[14:15]
                                        ; implicit-def: $vgpr22_vgpr23
                                        ; implicit-def: $vgpr4_vgpr5
	global_load_b128 v[10:13], v[0:1], off
	s_wait_loadcnt 0x0
	v_fmac_f64_e32 v[18:19], v[6:7], v[10:11]
	v_fmac_f64_e32 v[16:17], v[8:9], v[10:11]
                                        ; implicit-def: $vgpr10
	v_fma_f64 v[14:15], -v[8:9], v[12:13], v[18:19]
	s_delay_alu instid0(VALU_DEP_2)
	v_fmac_f64_e32 v[16:17], v[6:7], v[12:13]
	global_store_b128 v[0:1], v[14:17], off
                                        ; implicit-def: $vgpr0_vgpr1
                                        ; implicit-def: $vgpr16_vgpr17
                                        ; implicit-def: $vgpr14_vgpr15
.LBB44_43:
	s_wait_xcnt 0x0
	s_and_not1_saveexec_b32 s0, s0
	s_cbranch_execz .LBB44_48
; %bb.44:
	v_mul_f64_e64 v[6:7], v[16:17], -v[4:5]
	v_mul_f64_e32 v[8:9], v[2:3], v[16:17]
	v_cmp_ne_u32_e32 vcc_lo, 1, v10
	s_mov_b32 s0, -1
	s_delay_alu instid0(VALU_DEP_3) | instskip(NEXT) | instid1(VALU_DEP_3)
	v_fmac_f64_e32 v[6:7], v[2:3], v[14:15]
	v_fmac_f64_e32 v[8:9], v[4:5], v[14:15]
	s_cbranch_vccnz .LBB44_46
; %bb.45:
	v_lshl_add_u64 v[2:3], v[0:1], 4, v[24:25]
	s_mov_b32 s0, 0
	global_store_b128 v[2:3], v[6:9], off
.LBB44_46:
	s_and_not1_b32 vcc_lo, exec_lo, s0
	s_cbranch_vccnz .LBB44_48
; %bb.47:
	v_mul_u64_e32 v[0:1], s[2:3], v[0:1]
	s_delay_alu instid0(VALU_DEP_1)
	v_lshl_add_u64 v[0:1], v[0:1], 4, v[22:23]
	global_store_b128 v[0:1], v[6:9], off
.LBB44_48:
	s_endpgm
	.section	.rodata,"a",@progbits
	.p2align	6, 0x0
	.amdhsa_kernel _ZN9rocsparseL31bsrmm_large_blockdim_kernel_extILj8ELj8ELj2Ell21rocsparse_complex_numIdES2_S2_S2_EEvb20rocsparse_direction_T3_S4_llNS_24const_host_device_scalarIT7_EEPKT2_PKS4_PKT4_S4_PKT5_llS7_PT6_ll16rocsparse_order_21rocsparse_index_base_b
		.amdhsa_group_segment_fixed_size 3072
		.amdhsa_private_segment_fixed_size 0
		.amdhsa_kernarg_size 164
		.amdhsa_user_sgpr_count 2
		.amdhsa_user_sgpr_dispatch_ptr 0
		.amdhsa_user_sgpr_queue_ptr 0
		.amdhsa_user_sgpr_kernarg_segment_ptr 1
		.amdhsa_user_sgpr_dispatch_id 0
		.amdhsa_user_sgpr_kernarg_preload_length 0
		.amdhsa_user_sgpr_kernarg_preload_offset 0
		.amdhsa_user_sgpr_private_segment_size 0
		.amdhsa_wavefront_size32 1
		.amdhsa_uses_dynamic_stack 0
		.amdhsa_enable_private_segment 0
		.amdhsa_system_sgpr_workgroup_id_x 1
		.amdhsa_system_sgpr_workgroup_id_y 1
		.amdhsa_system_sgpr_workgroup_id_z 0
		.amdhsa_system_sgpr_workgroup_info 0
		.amdhsa_system_vgpr_workitem_id 1
		.amdhsa_next_free_vgpr 48
		.amdhsa_next_free_sgpr 38
		.amdhsa_named_barrier_count 0
		.amdhsa_reserve_vcc 1
		.amdhsa_float_round_mode_32 0
		.amdhsa_float_round_mode_16_64 0
		.amdhsa_float_denorm_mode_32 3
		.amdhsa_float_denorm_mode_16_64 3
		.amdhsa_fp16_overflow 0
		.amdhsa_memory_ordered 1
		.amdhsa_forward_progress 1
		.amdhsa_inst_pref_size 17
		.amdhsa_round_robin_scheduling 0
		.amdhsa_exception_fp_ieee_invalid_op 0
		.amdhsa_exception_fp_denorm_src 0
		.amdhsa_exception_fp_ieee_div_zero 0
		.amdhsa_exception_fp_ieee_overflow 0
		.amdhsa_exception_fp_ieee_underflow 0
		.amdhsa_exception_fp_ieee_inexact 0
		.amdhsa_exception_int_div_zero 0
	.end_amdhsa_kernel
	.section	.text._ZN9rocsparseL31bsrmm_large_blockdim_kernel_extILj8ELj8ELj2Ell21rocsparse_complex_numIdES2_S2_S2_EEvb20rocsparse_direction_T3_S4_llNS_24const_host_device_scalarIT7_EEPKT2_PKS4_PKT4_S4_PKT5_llS7_PT6_ll16rocsparse_order_21rocsparse_index_base_b,"axG",@progbits,_ZN9rocsparseL31bsrmm_large_blockdim_kernel_extILj8ELj8ELj2Ell21rocsparse_complex_numIdES2_S2_S2_EEvb20rocsparse_direction_T3_S4_llNS_24const_host_device_scalarIT7_EEPKT2_PKS4_PKT4_S4_PKT5_llS7_PT6_ll16rocsparse_order_21rocsparse_index_base_b,comdat
.Lfunc_end44:
	.size	_ZN9rocsparseL31bsrmm_large_blockdim_kernel_extILj8ELj8ELj2Ell21rocsparse_complex_numIdES2_S2_S2_EEvb20rocsparse_direction_T3_S4_llNS_24const_host_device_scalarIT7_EEPKT2_PKS4_PKT4_S4_PKT5_llS7_PT6_ll16rocsparse_order_21rocsparse_index_base_b, .Lfunc_end44-_ZN9rocsparseL31bsrmm_large_blockdim_kernel_extILj8ELj8ELj2Ell21rocsparse_complex_numIdES2_S2_S2_EEvb20rocsparse_direction_T3_S4_llNS_24const_host_device_scalarIT7_EEPKT2_PKS4_PKT4_S4_PKT5_llS7_PT6_ll16rocsparse_order_21rocsparse_index_base_b
                                        ; -- End function
	.set _ZN9rocsparseL31bsrmm_large_blockdim_kernel_extILj8ELj8ELj2Ell21rocsparse_complex_numIdES2_S2_S2_EEvb20rocsparse_direction_T3_S4_llNS_24const_host_device_scalarIT7_EEPKT2_PKS4_PKT4_S4_PKT5_llS7_PT6_ll16rocsparse_order_21rocsparse_index_base_b.num_vgpr, 48
	.set _ZN9rocsparseL31bsrmm_large_blockdim_kernel_extILj8ELj8ELj2Ell21rocsparse_complex_numIdES2_S2_S2_EEvb20rocsparse_direction_T3_S4_llNS_24const_host_device_scalarIT7_EEPKT2_PKS4_PKT4_S4_PKT5_llS7_PT6_ll16rocsparse_order_21rocsparse_index_base_b.num_agpr, 0
	.set _ZN9rocsparseL31bsrmm_large_blockdim_kernel_extILj8ELj8ELj2Ell21rocsparse_complex_numIdES2_S2_S2_EEvb20rocsparse_direction_T3_S4_llNS_24const_host_device_scalarIT7_EEPKT2_PKS4_PKT4_S4_PKT5_llS7_PT6_ll16rocsparse_order_21rocsparse_index_base_b.numbered_sgpr, 38
	.set _ZN9rocsparseL31bsrmm_large_blockdim_kernel_extILj8ELj8ELj2Ell21rocsparse_complex_numIdES2_S2_S2_EEvb20rocsparse_direction_T3_S4_llNS_24const_host_device_scalarIT7_EEPKT2_PKS4_PKT4_S4_PKT5_llS7_PT6_ll16rocsparse_order_21rocsparse_index_base_b.num_named_barrier, 0
	.set _ZN9rocsparseL31bsrmm_large_blockdim_kernel_extILj8ELj8ELj2Ell21rocsparse_complex_numIdES2_S2_S2_EEvb20rocsparse_direction_T3_S4_llNS_24const_host_device_scalarIT7_EEPKT2_PKS4_PKT4_S4_PKT5_llS7_PT6_ll16rocsparse_order_21rocsparse_index_base_b.private_seg_size, 0
	.set _ZN9rocsparseL31bsrmm_large_blockdim_kernel_extILj8ELj8ELj2Ell21rocsparse_complex_numIdES2_S2_S2_EEvb20rocsparse_direction_T3_S4_llNS_24const_host_device_scalarIT7_EEPKT2_PKS4_PKT4_S4_PKT5_llS7_PT6_ll16rocsparse_order_21rocsparse_index_base_b.uses_vcc, 1
	.set _ZN9rocsparseL31bsrmm_large_blockdim_kernel_extILj8ELj8ELj2Ell21rocsparse_complex_numIdES2_S2_S2_EEvb20rocsparse_direction_T3_S4_llNS_24const_host_device_scalarIT7_EEPKT2_PKS4_PKT4_S4_PKT5_llS7_PT6_ll16rocsparse_order_21rocsparse_index_base_b.uses_flat_scratch, 0
	.set _ZN9rocsparseL31bsrmm_large_blockdim_kernel_extILj8ELj8ELj2Ell21rocsparse_complex_numIdES2_S2_S2_EEvb20rocsparse_direction_T3_S4_llNS_24const_host_device_scalarIT7_EEPKT2_PKS4_PKT4_S4_PKT5_llS7_PT6_ll16rocsparse_order_21rocsparse_index_base_b.has_dyn_sized_stack, 0
	.set _ZN9rocsparseL31bsrmm_large_blockdim_kernel_extILj8ELj8ELj2Ell21rocsparse_complex_numIdES2_S2_S2_EEvb20rocsparse_direction_T3_S4_llNS_24const_host_device_scalarIT7_EEPKT2_PKS4_PKT4_S4_PKT5_llS7_PT6_ll16rocsparse_order_21rocsparse_index_base_b.has_recursion, 0
	.set _ZN9rocsparseL31bsrmm_large_blockdim_kernel_extILj8ELj8ELj2Ell21rocsparse_complex_numIdES2_S2_S2_EEvb20rocsparse_direction_T3_S4_llNS_24const_host_device_scalarIT7_EEPKT2_PKS4_PKT4_S4_PKT5_llS7_PT6_ll16rocsparse_order_21rocsparse_index_base_b.has_indirect_call, 0
	.section	.AMDGPU.csdata,"",@progbits
; Kernel info:
; codeLenInByte = 2056
; TotalNumSgprs: 40
; NumVgprs: 48
; ScratchSize: 0
; MemoryBound: 0
; FloatMode: 240
; IeeeMode: 1
; LDSByteSize: 3072 bytes/workgroup (compile time only)
; SGPRBlocks: 0
; VGPRBlocks: 2
; NumSGPRsForWavesPerEU: 40
; NumVGPRsForWavesPerEU: 48
; NamedBarCnt: 0
; Occupancy: 16
; WaveLimiterHint : 1
; COMPUTE_PGM_RSRC2:SCRATCH_EN: 0
; COMPUTE_PGM_RSRC2:USER_SGPR: 2
; COMPUTE_PGM_RSRC2:TRAP_HANDLER: 0
; COMPUTE_PGM_RSRC2:TGID_X_EN: 1
; COMPUTE_PGM_RSRC2:TGID_Y_EN: 1
; COMPUTE_PGM_RSRC2:TGID_Z_EN: 0
; COMPUTE_PGM_RSRC2:TIDIG_COMP_CNT: 1
	.section	.text._ZN9rocsparseL31bsrmm_large_blockdim_kernel_extILj4ELj16ELj2Ell21rocsparse_complex_numIdES2_S2_S2_EEvb20rocsparse_direction_T3_S4_llNS_24const_host_device_scalarIT7_EEPKT2_PKS4_PKT4_S4_PKT5_llS7_PT6_ll16rocsparse_order_21rocsparse_index_base_b,"axG",@progbits,_ZN9rocsparseL31bsrmm_large_blockdim_kernel_extILj4ELj16ELj2Ell21rocsparse_complex_numIdES2_S2_S2_EEvb20rocsparse_direction_T3_S4_llNS_24const_host_device_scalarIT7_EEPKT2_PKS4_PKT4_S4_PKT5_llS7_PT6_ll16rocsparse_order_21rocsparse_index_base_b,comdat
	.globl	_ZN9rocsparseL31bsrmm_large_blockdim_kernel_extILj4ELj16ELj2Ell21rocsparse_complex_numIdES2_S2_S2_EEvb20rocsparse_direction_T3_S4_llNS_24const_host_device_scalarIT7_EEPKT2_PKS4_PKT4_S4_PKT5_llS7_PT6_ll16rocsparse_order_21rocsparse_index_base_b ; -- Begin function _ZN9rocsparseL31bsrmm_large_blockdim_kernel_extILj4ELj16ELj2Ell21rocsparse_complex_numIdES2_S2_S2_EEvb20rocsparse_direction_T3_S4_llNS_24const_host_device_scalarIT7_EEPKT2_PKS4_PKT4_S4_PKT5_llS7_PT6_ll16rocsparse_order_21rocsparse_index_base_b
	.p2align	8
	.type	_ZN9rocsparseL31bsrmm_large_blockdim_kernel_extILj4ELj16ELj2Ell21rocsparse_complex_numIdES2_S2_S2_EEvb20rocsparse_direction_T3_S4_llNS_24const_host_device_scalarIT7_EEPKT2_PKS4_PKT4_S4_PKT5_llS7_PT6_ll16rocsparse_order_21rocsparse_index_base_b,@function
_ZN9rocsparseL31bsrmm_large_blockdim_kernel_extILj4ELj16ELj2Ell21rocsparse_complex_numIdES2_S2_S2_EEvb20rocsparse_direction_T3_S4_llNS_24const_host_device_scalarIT7_EEPKT2_PKS4_PKT4_S4_PKT5_llS7_PT6_ll16rocsparse_order_21rocsparse_index_base_b: ; @_ZN9rocsparseL31bsrmm_large_blockdim_kernel_extILj4ELj16ELj2Ell21rocsparse_complex_numIdES2_S2_S2_EEvb20rocsparse_direction_T3_S4_llNS_24const_host_device_scalarIT7_EEPKT2_PKS4_PKT4_S4_PKT5_llS7_PT6_ll16rocsparse_order_21rocsparse_index_base_b
; %bb.0:
	s_clause 0x1
	s_load_b96 s[16:18], s[0:1], 0x98
	s_load_b64 s[2:3], s[0:1], 0x28
	v_mov_b32_e32 v1, 0
	s_add_nc_u64 s[4:5], s[0:1], 40
	s_load_b64 s[6:7], s[0:1], 0x70
	s_wait_kmcnt 0x0
	s_bitcmp1_b32 s18, 0
	s_cselect_b32 s3, s5, s3
	s_cselect_b32 s2, s4, s2
	flat_load_b128 v[2:5], v1, s[2:3]
	s_wait_xcnt 0x0
	s_add_nc_u64 s[2:3], s[0:1], 0x70
	s_delay_alu instid0(SALU_CYCLE_1)
	s_cselect_b32 s3, s3, s7
	s_cselect_b32 s2, s2, s6
	flat_load_b128 v[6:9], v1, s[2:3]
	s_wait_loadcnt_dscnt 0x101
	v_cmp_eq_f64_e32 vcc_lo, 0, v[2:3]
	s_wait_xcnt 0x0
	v_cmp_eq_f64_e64 s2, 0, v[4:5]
	s_and_b32 s4, vcc_lo, s2
	s_mov_b32 s2, -1
	s_and_saveexec_b32 s3, s4
	s_cbranch_execz .LBB45_2
; %bb.1:
	s_wait_loadcnt_dscnt 0x0
	v_cmp_neq_f64_e32 vcc_lo, 1.0, v[6:7]
	v_cmp_neq_f64_e64 s2, 0, v[8:9]
	s_or_b32 s2, vcc_lo, s2
	s_delay_alu instid0(SALU_CYCLE_1)
	s_or_not1_b32 s2, s2, exec_lo
.LBB45_2:
	s_or_b32 exec_lo, exec_lo, s3
	s_and_saveexec_b32 s3, s2
	s_cbranch_execz .LBB45_48
; %bb.3:
	s_clause 0x1
	s_load_b128 s[4:7], s[0:1], 0x8
	s_load_b64 s[2:3], s[0:1], 0x38
	s_bfe_u32 s8, ttmp6, 0x4000c
	s_and_b32 s9, ttmp6, 15
	s_add_co_i32 s8, s8, 1
	s_getreg_b32 s10, hwreg(HW_REG_IB_STS2, 6, 4)
	s_mul_i32 s8, ttmp9, s8
	s_mov_b64 s[20:21], 0
	s_add_co_i32 s9, s9, s8
	s_cmp_eq_u32 s10, 0
	s_mov_b64 s[22:23], 0
	s_cselect_b32 s18, ttmp9, s9
	s_mov_b32 s9, 0
	s_ashr_i32 s19, s18, 31
	s_wait_kmcnt 0x0
	v_cmp_le_i64_e64 s8, s[4:5], s[18:19]
	v_cmp_gt_i64_e64 s33, s[4:5], s[18:19]
	s_and_b32 vcc_lo, exec_lo, s8
	s_cbranch_vccnz .LBB45_5
; %bb.4:
	s_lshl_b64 s[4:5], s[18:19], 3
	s_mov_b32 s8, s17
	s_add_nc_u64 s[4:5], s[2:3], s[4:5]
	s_load_b64 s[4:5], s[4:5], 0x0
	s_wait_kmcnt 0x0
	s_sub_nc_u64 s[22:23], s[4:5], s[8:9]
.LBB45_5:
	s_and_not1_b32 vcc_lo, exec_lo, s33
	s_cbranch_vccnz .LBB45_7
; %bb.6:
	s_lshl_b64 s[4:5], s[18:19], 3
	s_delay_alu instid0(SALU_CYCLE_1)
	s_add_nc_u64 s[2:3], s[2:3], s[4:5]
	s_mov_b32 s5, 0
	s_load_b64 s[2:3], s[2:3], 0x8
	s_mov_b32 s4, s17
	s_wait_kmcnt 0x0
	s_sub_nc_u64 s[20:21], s[2:3], s[4:5]
.LBB45_7:
	s_bfe_u32 s2, ttmp6, 0x40010
	s_clause 0x1
	s_load_b64 s[24:25], s[0:1], 0x50
	s_load_b64 s[26:27], s[0:1], 0x80
	s_add_co_i32 s2, s2, 1
	s_bfe_u32 s3, ttmp6, 0x40004
	s_mul_i32 s2, ttmp7, s2
	v_bfe_u32 v26, v0, 10, 10
	s_add_co_i32 s3, s3, s2
	s_cmp_eq_u32 s10, 0
	v_and_b32_e32 v10, 0x3ff, v0
	s_cselect_b32 s2, ttmp7, s3
	v_cmp_ge_i64_e64 s5, s[22:23], s[20:21]
	v_lshl_add_u32 v18, s2, 5, v26
	v_mov_b32_e32 v19, 0
	v_mov_b64_e32 v[20:21], 0
	v_mov_b64_e32 v[12:13], 0
	;; [unrolled: 1-line block ×3, first 2 shown]
	s_delay_alu instid0(VALU_DEP_4)
	v_dual_mov_b32 v1, v19 :: v_dual_add_nc_u32 v0, 16, v18
	v_mov_b32_e32 v11, v19
	v_cmp_gt_i64_e64 s3, s[6:7], v[18:19]
	v_mov_b64_e32 v[16:17], 0
	s_and_b32 vcc_lo, exec_lo, s5
	v_cmp_gt_i64_e64 s4, s[6:7], v[0:1]
	s_wait_kmcnt 0x0
	v_cmp_gt_i64_e64 s2, s[24:25], v[10:11]
	s_mov_b32 s29, 0
	s_cbranch_vccnz .LBB45_25
; %bb.8:
	v_dual_mov_b32 v27, v19 :: v_dual_lshlrev_b32 v32, 4, v26
	s_load_b128 s[8:11], s[0:1], 0x58
	v_mul_u64_e32 v[28:29], s[24:25], v[10:11]
	s_clause 0x1
	s_load_b128 s[12:15], s[0:1], 0x40
	s_load_b64 s[34:35], s[0:1], 0x0
	v_mul_u64_e32 v[30:31], s[24:25], v[26:27]
	v_cmp_gt_i64_e32 vcc_lo, s[24:25], v[26:27]
	v_dual_mov_b32 v41, v19 :: v_dual_lshlrev_b32 v40, 4, v10
	v_dual_mov_b32 v33, v19 :: v_dual_lshlrev_b32 v34, 6, v26
	v_lshl_add_u32 v35, v10, 6, 0x800
	v_cmp_gt_i64_e64 s36, s[24:25], 0
	s_and_b32 s19, s2, vcc_lo
	v_mov_b64_e32 v[16:17], 0
	v_mov_b64_e32 v[14:15], 0
	v_mov_b64_e32 v[12:13], 0
	v_mov_b64_e32 v[20:21], 0
	v_add_nc_u32_e32 v39, 0x400, v34
	s_mul_u64 s[30:31], s[24:25], s[24:25]
	s_mov_b32 s28, s17
	s_wait_kmcnt 0x0
	v_mul_u64_e32 v[22:23], s[10:11], v[18:19]
	v_mul_u64_e32 v[24:25], s[10:11], v[0:1]
	s_bitcmp1_b32 s34, 0
	s_cselect_b32 s5, -1, 0
	s_cmp_eq_u32 s35, 0
	s_cselect_b32 vcc_lo, -1, 0
	s_and_b32 s17, s3, s36
	s_and_b32 s34, s4, s36
	v_lshl_add_u64 v[26:27], v[28:29], 4, s[14:15]
	v_lshl_add_u64 v[28:29], v[30:31], 4, s[14:15]
	s_delay_alu instid0(VALU_DEP_2) | instskip(SKIP_1) | instid1(VALU_DEP_3)
	v_add_nc_u64_e32 v[30:31], v[26:27], v[32:33]
	v_add_nc_u64_e32 v[26:27], s[8:9], v[40:41]
	;; [unrolled: 1-line block ×3, first 2 shown]
	v_add_nc_u32_e32 v36, v34, v40
	s_delay_alu instid0(VALU_DEP_2) | instskip(NEXT) | instid1(VALU_DEP_2)
	v_dual_cndmask_b32 v28, v28, v30 :: v_dual_add_nc_u32 v37, v35, v32
	v_dual_cndmask_b32 v29, v29, v31 :: v_dual_add_nc_u32 v38, 0x400, v36
	s_branch .LBB45_11
.LBB45_9:                               ;   in Loop: Header=BB45_11 Depth=1
	s_or_b32 exec_lo, exec_lo, s36
.LBB45_10:                              ;   in Loop: Header=BB45_11 Depth=1
	s_delay_alu instid0(SALU_CYCLE_1) | instskip(SKIP_1) | instid1(SALU_CYCLE_1)
	s_or_b32 exec_lo, exec_lo, s35
	s_add_nc_u64 s[22:23], s[22:23], 1
	v_cmp_ge_i64_e64 s14, s[22:23], s[20:21]
	s_barrier_signal -1
	s_barrier_wait -1
	s_and_b32 vcc_lo, exec_lo, s14
	s_cbranch_vccnz .LBB45_25
.LBB45_11:                              ; =>This Loop Header: Depth=1
                                        ;     Child Loop BB45_21 Depth 2
                                        ;     Child Loop BB45_24 Depth 2
	s_and_saveexec_b32 s14, s2
	s_cbranch_execz .LBB45_16
; %bb.12:                               ;   in Loop: Header=BB45_11 Depth=1
	s_lshl_b64 s[36:37], s[22:23], 3
	s_delay_alu instid0(SALU_CYCLE_1) | instskip(SKIP_3) | instid1(SALU_CYCLE_1)
	s_add_nc_u64 s[36:37], s[12:13], s[36:37]
	s_load_b64 s[36:37], s[36:37], 0x0
	s_wait_kmcnt 0x0
	s_sub_nc_u64 s[36:37], s[36:37], s[28:29]
	s_mul_u64 s[36:37], s[36:37], s[24:25]
	s_delay_alu instid0(SALU_CYCLE_1) | instskip(SKIP_1) | instid1(VALU_DEP_2)
	v_add_nc_u64_e32 v[30:31], s[36:37], v[10:11]
	v_lshl_add_u64 v[32:33], s[36:37], 4, v[26:27]
	v_mul_u64_e32 v[30:31], s[10:11], v[30:31]
	s_delay_alu instid0(VALU_DEP_1)
	v_lshl_add_u64 v[30:31], v[30:31], 4, s[8:9]
	s_and_saveexec_b32 s15, s3
	s_cbranch_execz .LBB45_14
; %bb.13:                               ;   in Loop: Header=BB45_11 Depth=1
	v_lshl_add_u64 v[40:41], v[22:23], 4, v[32:33]
	s_delay_alu instid0(VALU_DEP_2) | instskip(NEXT) | instid1(VALU_DEP_1)
	v_lshl_add_u64 v[42:43], v[18:19], 4, v[30:31]
	v_dual_cndmask_b32 v41, v43, v41, s5 :: v_dual_cndmask_b32 v40, v42, v40, s5
	global_load_b128 v[40:43], v[40:41], off
	s_wait_loadcnt 0x0
	ds_store_2addr_b64 v36, v[40:41], v[42:43] offset1:1
.LBB45_14:                              ;   in Loop: Header=BB45_11 Depth=1
	s_or_b32 exec_lo, exec_lo, s15
	s_delay_alu instid0(SALU_CYCLE_1)
	s_and_b32 exec_lo, exec_lo, s4
	s_cbranch_execz .LBB45_16
; %bb.15:                               ;   in Loop: Header=BB45_11 Depth=1
	v_lshl_add_u64 v[32:33], v[24:25], 4, v[32:33]
	v_lshl_add_u64 v[30:31], v[0:1], 4, v[30:31]
	s_delay_alu instid0(VALU_DEP_1)
	v_dual_cndmask_b32 v31, v31, v33, s5 :: v_dual_cndmask_b32 v30, v30, v32, s5
	global_load_b128 v[30:33], v[30:31], off
	s_wait_loadcnt 0x0
	ds_store_2addr_b64 v38, v[30:31], v[32:33] offset1:1
.LBB45_16:                              ;   in Loop: Header=BB45_11 Depth=1
	s_or_b32 exec_lo, exec_lo, s14
	s_and_saveexec_b32 s14, s19
	s_cbranch_execz .LBB45_18
; %bb.17:                               ;   in Loop: Header=BB45_11 Depth=1
	s_mul_u64 s[36:37], s[30:31], s[22:23]
	s_delay_alu instid0(SALU_CYCLE_1)
	v_lshl_add_u64 v[30:31], s[36:37], 4, v[28:29]
	global_load_b128 v[30:33], v[30:31], off
	s_wait_loadcnt 0x0
	ds_store_2addr_b64 v37, v[30:31], v[32:33] offset1:1
.LBB45_18:                              ;   in Loop: Header=BB45_11 Depth=1
	s_or_b32 exec_lo, exec_lo, s14
	s_wait_loadcnt_dscnt 0x0
	s_barrier_signal -1
	s_barrier_wait -1
	s_and_saveexec_b32 s35, s2
	s_cbranch_execz .LBB45_10
; %bb.19:                               ;   in Loop: Header=BB45_11 Depth=1
	s_and_saveexec_b32 s36, s17
	s_cbranch_execz .LBB45_22
; %bb.20:                               ;   in Loop: Header=BB45_11 Depth=1
	v_dual_mov_b32 v30, v35 :: v_dual_mov_b32 v31, v34
	s_mov_b64 s[14:15], s[24:25]
.LBB45_21:                              ;   Parent Loop BB45_11 Depth=1
                                        ; =>  This Inner Loop Header: Depth=2
	ds_load_b128 v[40:43], v30
	ds_load_b128 v[44:47], v31
	v_dual_add_nc_u32 v31, 16, v31 :: v_dual_add_nc_u32 v30, 16, v30
	s_add_nc_u64 s[14:15], s[14:15], -1
	s_delay_alu instid0(SALU_CYCLE_1) | instskip(SKIP_3) | instid1(VALU_DEP_2)
	s_cmp_lg_u64 s[14:15], 0
	s_wait_dscnt 0x0
	v_fmac_f64_e32 v[20:21], v[40:41], v[44:45]
	v_fmac_f64_e32 v[12:13], v[42:43], v[44:45]
	v_fma_f64 v[20:21], -v[42:43], v[46:47], v[20:21]
	s_delay_alu instid0(VALU_DEP_2)
	v_fmac_f64_e32 v[12:13], v[40:41], v[46:47]
	s_cbranch_scc1 .LBB45_21
.LBB45_22:                              ;   in Loop: Header=BB45_11 Depth=1
	s_or_b32 exec_lo, exec_lo, s36
	s_and_saveexec_b32 s36, s34
	s_cbranch_execz .LBB45_9
; %bb.23:                               ;   in Loop: Header=BB45_11 Depth=1
	v_dual_mov_b32 v30, v35 :: v_dual_mov_b32 v31, v39
	s_mov_b64 s[14:15], s[24:25]
.LBB45_24:                              ;   Parent Loop BB45_11 Depth=1
                                        ; =>  This Inner Loop Header: Depth=2
	ds_load_b128 v[40:43], v30
	ds_load_b128 v[44:47], v31
	v_dual_add_nc_u32 v31, 16, v31 :: v_dual_add_nc_u32 v30, 16, v30
	s_add_nc_u64 s[14:15], s[14:15], -1
	s_delay_alu instid0(SALU_CYCLE_1) | instskip(SKIP_3) | instid1(VALU_DEP_2)
	s_cmp_lg_u64 s[14:15], 0
	s_wait_dscnt 0x0
	v_fmac_f64_e32 v[14:15], v[40:41], v[44:45]
	v_fmac_f64_e32 v[16:17], v[42:43], v[44:45]
	v_fma_f64 v[14:15], -v[42:43], v[46:47], v[14:15]
	s_delay_alu instid0(VALU_DEP_2)
	v_fmac_f64_e32 v[16:17], v[40:41], v[46:47]
	s_cbranch_scc1 .LBB45_24
	s_branch .LBB45_9
.LBB45_25:
	s_and_b32 s2, s33, s2
	s_delay_alu instid0(SALU_CYCLE_1)
	s_and_b32 exec_lo, exec_lo, s2
	s_cbranch_execz .LBB45_48
; %bb.26:
	v_mad_nc_u64_u32 v[10:11], s24, s18, v[10:11]
	s_load_b64 s[2:3], s[0:1], 0x88
	s_wait_loadcnt_dscnt 0x0
	v_cmp_neq_f64_e32 vcc_lo, 0, v[6:7]
	s_wait_xcnt 0x0
	v_cmp_neq_f64_e64 s0, 0, v[8:9]
	s_mov_b32 s5, exec_lo
	v_mad_u32 v11, s25, s18, v11
	s_wait_kmcnt 0x0
	s_delay_alu instid0(VALU_DEP_1) | instskip(SKIP_3) | instid1(VALU_DEP_1)
	v_mul_u64_e32 v[22:23], s[2:3], v[10:11]
	s_or_b32 s0, vcc_lo, s0
	s_cmp_lg_u32 s16, 1
	s_cselect_b32 s4, -1, 0
	v_lshl_add_u64 v[24:25], v[22:23], 4, s[26:27]
	v_lshl_add_u64 v[22:23], v[10:11], 4, s[26:27]
	v_cmpx_gt_i64_e64 s[6:7], v[18:19]
	s_cbranch_execz .LBB45_37
; %bb.27:
	s_and_saveexec_b32 s1, s0
	s_delay_alu instid0(SALU_CYCLE_1)
	s_xor_b32 s1, exec_lo, s1
	s_cbranch_execz .LBB45_32
; %bb.28:
	s_and_b32 vcc_lo, exec_lo, s4
	s_mov_b32 s8, -1
	s_cbranch_vccz .LBB45_30
; %bb.29:
	v_lshl_add_u64 v[10:11], v[18:19], 4, v[24:25]
	v_mul_f64_e64 v[30:31], v[12:13], -v[4:5]
	v_mul_f64_e32 v[32:33], v[2:3], v[12:13]
	s_mov_b32 s8, 0
	global_load_b128 v[26:29], v[10:11], off
	v_fmac_f64_e32 v[30:31], v[2:3], v[20:21]
	v_fmac_f64_e32 v[32:33], v[4:5], v[20:21]
	s_wait_loadcnt 0x0
	s_delay_alu instid0(VALU_DEP_2) | instskip(NEXT) | instid1(VALU_DEP_2)
	v_fmac_f64_e32 v[30:31], v[6:7], v[26:27]
	v_fmac_f64_e32 v[32:33], v[8:9], v[26:27]
	s_delay_alu instid0(VALU_DEP_2) | instskip(NEXT) | instid1(VALU_DEP_2)
	v_fma_f64 v[30:31], -v[8:9], v[28:29], v[30:31]
	v_fmac_f64_e32 v[32:33], v[6:7], v[28:29]
	global_store_b128 v[10:11], v[30:33], off
.LBB45_30:
	s_and_not1_b32 vcc_lo, exec_lo, s8
	s_cbranch_vccnz .LBB45_32
; %bb.31:
	s_wait_xcnt 0x0
	v_mul_u64_e32 v[10:11], s[2:3], v[18:19]
	s_delay_alu instid0(VALU_DEP_1)
	v_lshl_add_u64 v[18:19], v[10:11], 4, v[22:23]
	v_mul_f64_e64 v[10:11], v[12:13], -v[4:5]
	v_mul_f64_e32 v[12:13], v[2:3], v[12:13]
	global_load_b128 v[26:29], v[18:19], off
	v_fmac_f64_e32 v[10:11], v[2:3], v[20:21]
	v_fmac_f64_e32 v[12:13], v[4:5], v[20:21]
                                        ; implicit-def: $vgpr20_vgpr21
	s_wait_loadcnt 0x0
	s_delay_alu instid0(VALU_DEP_2) | instskip(NEXT) | instid1(VALU_DEP_2)
	v_fmac_f64_e32 v[10:11], v[6:7], v[26:27]
	v_fmac_f64_e32 v[12:13], v[8:9], v[26:27]
	s_delay_alu instid0(VALU_DEP_2) | instskip(NEXT) | instid1(VALU_DEP_2)
	v_fma_f64 v[10:11], -v[8:9], v[28:29], v[10:11]
	v_fmac_f64_e32 v[12:13], v[6:7], v[28:29]
	global_store_b128 v[18:19], v[10:13], off
                                        ; implicit-def: $vgpr18_vgpr19
                                        ; implicit-def: $vgpr12_vgpr13
.LBB45_32:
	s_wait_xcnt 0x0
	s_and_not1_saveexec_b32 s1, s1
	s_cbranch_execz .LBB45_37
; %bb.33:
	v_mul_f64_e64 v[10:11], v[12:13], -v[4:5]
	v_mul_f64_e32 v[12:13], v[2:3], v[12:13]
	s_and_b32 vcc_lo, exec_lo, s4
	s_mov_b32 s1, -1
	s_delay_alu instid0(VALU_DEP_2) | instskip(NEXT) | instid1(VALU_DEP_2)
	v_fmac_f64_e32 v[10:11], v[2:3], v[20:21]
	v_fmac_f64_e32 v[12:13], v[4:5], v[20:21]
	s_cbranch_vccz .LBB45_35
; %bb.34:
	v_lshl_add_u64 v[20:21], v[18:19], 4, v[24:25]
	s_mov_b32 s1, 0
	global_store_b128 v[20:21], v[10:13], off
.LBB45_35:
	s_and_not1_b32 vcc_lo, exec_lo, s1
	s_cbranch_vccnz .LBB45_37
; %bb.36:
	v_mul_u64_e32 v[18:19], s[2:3], v[18:19]
	s_delay_alu instid0(VALU_DEP_1)
	v_lshl_add_u64 v[18:19], v[18:19], 4, v[22:23]
	global_store_b128 v[18:19], v[10:13], off
.LBB45_37:
	s_wait_xcnt 0x0
	s_or_b32 exec_lo, exec_lo, s5
	v_cmp_gt_i64_e32 vcc_lo, s[6:7], v[0:1]
	s_and_b32 exec_lo, exec_lo, vcc_lo
	s_cbranch_execz .LBB45_48
; %bb.38:
	v_cndmask_b32_e64 v10, 0, 1, s4
	s_and_saveexec_b32 s1, s0
	s_delay_alu instid0(SALU_CYCLE_1)
	s_xor_b32 s0, exec_lo, s1
	s_cbranch_execz .LBB45_43
; %bb.39:
	s_delay_alu instid0(VALU_DEP_1)
	v_cmp_ne_u32_e32 vcc_lo, 1, v10
	s_mov_b32 s1, -1
	s_cbranch_vccnz .LBB45_41
; %bb.40:
	v_lshl_add_u64 v[24:25], v[0:1], 4, v[24:25]
	v_mul_f64_e64 v[18:19], v[16:17], -v[4:5]
	v_mul_f64_e32 v[20:21], v[2:3], v[16:17]
	s_mov_b32 s1, 0
	global_load_b128 v[10:13], v[24:25], off
	v_fmac_f64_e32 v[18:19], v[2:3], v[14:15]
	v_fmac_f64_e32 v[20:21], v[4:5], v[14:15]
	s_wait_loadcnt 0x0
	s_delay_alu instid0(VALU_DEP_2) | instskip(NEXT) | instid1(VALU_DEP_2)
	v_fmac_f64_e32 v[18:19], v[6:7], v[10:11]
	v_fmac_f64_e32 v[20:21], v[8:9], v[10:11]
	s_delay_alu instid0(VALU_DEP_2) | instskip(NEXT) | instid1(VALU_DEP_2)
	v_fma_f64 v[18:19], -v[8:9], v[12:13], v[18:19]
	v_fmac_f64_e32 v[20:21], v[6:7], v[12:13]
	global_store_b128 v[24:25], v[18:21], off
.LBB45_41:
	s_and_not1_b32 vcc_lo, exec_lo, s1
                                        ; implicit-def: $vgpr10
                                        ; implicit-def: $vgpr24_vgpr25
	s_cbranch_vccnz .LBB45_43
; %bb.42:
	v_mul_u64_e32 v[0:1], s[2:3], v[0:1]
	s_wait_xcnt 0x0
	v_mul_f64_e64 v[18:19], v[16:17], -v[4:5]
	v_mul_f64_e32 v[16:17], v[2:3], v[16:17]
                                        ; implicit-def: $vgpr24_vgpr25
	s_delay_alu instid0(VALU_DEP_3) | instskip(NEXT) | instid1(VALU_DEP_3)
	v_lshl_add_u64 v[0:1], v[0:1], 4, v[22:23]
	v_fmac_f64_e32 v[18:19], v[2:3], v[14:15]
	s_delay_alu instid0(VALU_DEP_3) | instskip(SKIP_4) | instid1(VALU_DEP_2)
	v_fmac_f64_e32 v[16:17], v[4:5], v[14:15]
                                        ; implicit-def: $vgpr22_vgpr23
                                        ; implicit-def: $vgpr4_vgpr5
	global_load_b128 v[10:13], v[0:1], off
	s_wait_loadcnt 0x0
	v_fmac_f64_e32 v[18:19], v[6:7], v[10:11]
	v_fmac_f64_e32 v[16:17], v[8:9], v[10:11]
                                        ; implicit-def: $vgpr10
	v_fma_f64 v[14:15], -v[8:9], v[12:13], v[18:19]
	s_delay_alu instid0(VALU_DEP_2)
	v_fmac_f64_e32 v[16:17], v[6:7], v[12:13]
	global_store_b128 v[0:1], v[14:17], off
                                        ; implicit-def: $vgpr0_vgpr1
                                        ; implicit-def: $vgpr16_vgpr17
                                        ; implicit-def: $vgpr14_vgpr15
.LBB45_43:
	s_wait_xcnt 0x0
	s_and_not1_saveexec_b32 s0, s0
	s_cbranch_execz .LBB45_48
; %bb.44:
	v_mul_f64_e64 v[6:7], v[16:17], -v[4:5]
	v_mul_f64_e32 v[8:9], v[2:3], v[16:17]
	v_cmp_ne_u32_e32 vcc_lo, 1, v10
	s_mov_b32 s0, -1
	s_delay_alu instid0(VALU_DEP_3) | instskip(NEXT) | instid1(VALU_DEP_3)
	v_fmac_f64_e32 v[6:7], v[2:3], v[14:15]
	v_fmac_f64_e32 v[8:9], v[4:5], v[14:15]
	s_cbranch_vccnz .LBB45_46
; %bb.45:
	v_lshl_add_u64 v[2:3], v[0:1], 4, v[24:25]
	s_mov_b32 s0, 0
	global_store_b128 v[2:3], v[6:9], off
.LBB45_46:
	s_and_not1_b32 vcc_lo, exec_lo, s0
	s_cbranch_vccnz .LBB45_48
; %bb.47:
	v_mul_u64_e32 v[0:1], s[2:3], v[0:1]
	s_delay_alu instid0(VALU_DEP_1)
	v_lshl_add_u64 v[0:1], v[0:1], 4, v[22:23]
	global_store_b128 v[0:1], v[6:9], off
.LBB45_48:
	s_endpgm
	.section	.rodata,"a",@progbits
	.p2align	6, 0x0
	.amdhsa_kernel _ZN9rocsparseL31bsrmm_large_blockdim_kernel_extILj4ELj16ELj2Ell21rocsparse_complex_numIdES2_S2_S2_EEvb20rocsparse_direction_T3_S4_llNS_24const_host_device_scalarIT7_EEPKT2_PKS4_PKT4_S4_PKT5_llS7_PT6_ll16rocsparse_order_21rocsparse_index_base_b
		.amdhsa_group_segment_fixed_size 2304
		.amdhsa_private_segment_fixed_size 0
		.amdhsa_kernarg_size 164
		.amdhsa_user_sgpr_count 2
		.amdhsa_user_sgpr_dispatch_ptr 0
		.amdhsa_user_sgpr_queue_ptr 0
		.amdhsa_user_sgpr_kernarg_segment_ptr 1
		.amdhsa_user_sgpr_dispatch_id 0
		.amdhsa_user_sgpr_kernarg_preload_length 0
		.amdhsa_user_sgpr_kernarg_preload_offset 0
		.amdhsa_user_sgpr_private_segment_size 0
		.amdhsa_wavefront_size32 1
		.amdhsa_uses_dynamic_stack 0
		.amdhsa_enable_private_segment 0
		.amdhsa_system_sgpr_workgroup_id_x 1
		.amdhsa_system_sgpr_workgroup_id_y 1
		.amdhsa_system_sgpr_workgroup_id_z 0
		.amdhsa_system_sgpr_workgroup_info 0
		.amdhsa_system_vgpr_workitem_id 1
		.amdhsa_next_free_vgpr 48
		.amdhsa_next_free_sgpr 38
		.amdhsa_named_barrier_count 0
		.amdhsa_reserve_vcc 1
		.amdhsa_float_round_mode_32 0
		.amdhsa_float_round_mode_16_64 0
		.amdhsa_float_denorm_mode_32 3
		.amdhsa_float_denorm_mode_16_64 3
		.amdhsa_fp16_overflow 0
		.amdhsa_memory_ordered 1
		.amdhsa_forward_progress 1
		.amdhsa_inst_pref_size 17
		.amdhsa_round_robin_scheduling 0
		.amdhsa_exception_fp_ieee_invalid_op 0
		.amdhsa_exception_fp_denorm_src 0
		.amdhsa_exception_fp_ieee_div_zero 0
		.amdhsa_exception_fp_ieee_overflow 0
		.amdhsa_exception_fp_ieee_underflow 0
		.amdhsa_exception_fp_ieee_inexact 0
		.amdhsa_exception_int_div_zero 0
	.end_amdhsa_kernel
	.section	.text._ZN9rocsparseL31bsrmm_large_blockdim_kernel_extILj4ELj16ELj2Ell21rocsparse_complex_numIdES2_S2_S2_EEvb20rocsparse_direction_T3_S4_llNS_24const_host_device_scalarIT7_EEPKT2_PKS4_PKT4_S4_PKT5_llS7_PT6_ll16rocsparse_order_21rocsparse_index_base_b,"axG",@progbits,_ZN9rocsparseL31bsrmm_large_blockdim_kernel_extILj4ELj16ELj2Ell21rocsparse_complex_numIdES2_S2_S2_EEvb20rocsparse_direction_T3_S4_llNS_24const_host_device_scalarIT7_EEPKT2_PKS4_PKT4_S4_PKT5_llS7_PT6_ll16rocsparse_order_21rocsparse_index_base_b,comdat
.Lfunc_end45:
	.size	_ZN9rocsparseL31bsrmm_large_blockdim_kernel_extILj4ELj16ELj2Ell21rocsparse_complex_numIdES2_S2_S2_EEvb20rocsparse_direction_T3_S4_llNS_24const_host_device_scalarIT7_EEPKT2_PKS4_PKT4_S4_PKT5_llS7_PT6_ll16rocsparse_order_21rocsparse_index_base_b, .Lfunc_end45-_ZN9rocsparseL31bsrmm_large_blockdim_kernel_extILj4ELj16ELj2Ell21rocsparse_complex_numIdES2_S2_S2_EEvb20rocsparse_direction_T3_S4_llNS_24const_host_device_scalarIT7_EEPKT2_PKS4_PKT4_S4_PKT5_llS7_PT6_ll16rocsparse_order_21rocsparse_index_base_b
                                        ; -- End function
	.set _ZN9rocsparseL31bsrmm_large_blockdim_kernel_extILj4ELj16ELj2Ell21rocsparse_complex_numIdES2_S2_S2_EEvb20rocsparse_direction_T3_S4_llNS_24const_host_device_scalarIT7_EEPKT2_PKS4_PKT4_S4_PKT5_llS7_PT6_ll16rocsparse_order_21rocsparse_index_base_b.num_vgpr, 48
	.set _ZN9rocsparseL31bsrmm_large_blockdim_kernel_extILj4ELj16ELj2Ell21rocsparse_complex_numIdES2_S2_S2_EEvb20rocsparse_direction_T3_S4_llNS_24const_host_device_scalarIT7_EEPKT2_PKS4_PKT4_S4_PKT5_llS7_PT6_ll16rocsparse_order_21rocsparse_index_base_b.num_agpr, 0
	.set _ZN9rocsparseL31bsrmm_large_blockdim_kernel_extILj4ELj16ELj2Ell21rocsparse_complex_numIdES2_S2_S2_EEvb20rocsparse_direction_T3_S4_llNS_24const_host_device_scalarIT7_EEPKT2_PKS4_PKT4_S4_PKT5_llS7_PT6_ll16rocsparse_order_21rocsparse_index_base_b.numbered_sgpr, 38
	.set _ZN9rocsparseL31bsrmm_large_blockdim_kernel_extILj4ELj16ELj2Ell21rocsparse_complex_numIdES2_S2_S2_EEvb20rocsparse_direction_T3_S4_llNS_24const_host_device_scalarIT7_EEPKT2_PKS4_PKT4_S4_PKT5_llS7_PT6_ll16rocsparse_order_21rocsparse_index_base_b.num_named_barrier, 0
	.set _ZN9rocsparseL31bsrmm_large_blockdim_kernel_extILj4ELj16ELj2Ell21rocsparse_complex_numIdES2_S2_S2_EEvb20rocsparse_direction_T3_S4_llNS_24const_host_device_scalarIT7_EEPKT2_PKS4_PKT4_S4_PKT5_llS7_PT6_ll16rocsparse_order_21rocsparse_index_base_b.private_seg_size, 0
	.set _ZN9rocsparseL31bsrmm_large_blockdim_kernel_extILj4ELj16ELj2Ell21rocsparse_complex_numIdES2_S2_S2_EEvb20rocsparse_direction_T3_S4_llNS_24const_host_device_scalarIT7_EEPKT2_PKS4_PKT4_S4_PKT5_llS7_PT6_ll16rocsparse_order_21rocsparse_index_base_b.uses_vcc, 1
	.set _ZN9rocsparseL31bsrmm_large_blockdim_kernel_extILj4ELj16ELj2Ell21rocsparse_complex_numIdES2_S2_S2_EEvb20rocsparse_direction_T3_S4_llNS_24const_host_device_scalarIT7_EEPKT2_PKS4_PKT4_S4_PKT5_llS7_PT6_ll16rocsparse_order_21rocsparse_index_base_b.uses_flat_scratch, 0
	.set _ZN9rocsparseL31bsrmm_large_blockdim_kernel_extILj4ELj16ELj2Ell21rocsparse_complex_numIdES2_S2_S2_EEvb20rocsparse_direction_T3_S4_llNS_24const_host_device_scalarIT7_EEPKT2_PKS4_PKT4_S4_PKT5_llS7_PT6_ll16rocsparse_order_21rocsparse_index_base_b.has_dyn_sized_stack, 0
	.set _ZN9rocsparseL31bsrmm_large_blockdim_kernel_extILj4ELj16ELj2Ell21rocsparse_complex_numIdES2_S2_S2_EEvb20rocsparse_direction_T3_S4_llNS_24const_host_device_scalarIT7_EEPKT2_PKS4_PKT4_S4_PKT5_llS7_PT6_ll16rocsparse_order_21rocsparse_index_base_b.has_recursion, 0
	.set _ZN9rocsparseL31bsrmm_large_blockdim_kernel_extILj4ELj16ELj2Ell21rocsparse_complex_numIdES2_S2_S2_EEvb20rocsparse_direction_T3_S4_llNS_24const_host_device_scalarIT7_EEPKT2_PKS4_PKT4_S4_PKT5_llS7_PT6_ll16rocsparse_order_21rocsparse_index_base_b.has_indirect_call, 0
	.section	.AMDGPU.csdata,"",@progbits
; Kernel info:
; codeLenInByte = 2056
; TotalNumSgprs: 40
; NumVgprs: 48
; ScratchSize: 0
; MemoryBound: 0
; FloatMode: 240
; IeeeMode: 1
; LDSByteSize: 2304 bytes/workgroup (compile time only)
; SGPRBlocks: 0
; VGPRBlocks: 2
; NumSGPRsForWavesPerEU: 40
; NumVGPRsForWavesPerEU: 48
; NamedBarCnt: 0
; Occupancy: 16
; WaveLimiterHint : 1
; COMPUTE_PGM_RSRC2:SCRATCH_EN: 0
; COMPUTE_PGM_RSRC2:USER_SGPR: 2
; COMPUTE_PGM_RSRC2:TRAP_HANDLER: 0
; COMPUTE_PGM_RSRC2:TGID_X_EN: 1
; COMPUTE_PGM_RSRC2:TGID_Y_EN: 1
; COMPUTE_PGM_RSRC2:TGID_Z_EN: 0
; COMPUTE_PGM_RSRC2:TIDIG_COMP_CNT: 1
	.section	.text._ZN9rocsparseL31bsrmm_large_blockdim_kernel_extILj16ELj16ELj2Ell21rocsparse_complex_numIdES2_S2_S2_EEvb20rocsparse_direction_T3_S4_llNS_24const_host_device_scalarIT7_EEPKT2_PKS4_PKT4_S4_PKT5_llS7_PT6_ll16rocsparse_order_21rocsparse_index_base_b,"axG",@progbits,_ZN9rocsparseL31bsrmm_large_blockdim_kernel_extILj16ELj16ELj2Ell21rocsparse_complex_numIdES2_S2_S2_EEvb20rocsparse_direction_T3_S4_llNS_24const_host_device_scalarIT7_EEPKT2_PKS4_PKT4_S4_PKT5_llS7_PT6_ll16rocsparse_order_21rocsparse_index_base_b,comdat
	.globl	_ZN9rocsparseL31bsrmm_large_blockdim_kernel_extILj16ELj16ELj2Ell21rocsparse_complex_numIdES2_S2_S2_EEvb20rocsparse_direction_T3_S4_llNS_24const_host_device_scalarIT7_EEPKT2_PKS4_PKT4_S4_PKT5_llS7_PT6_ll16rocsparse_order_21rocsparse_index_base_b ; -- Begin function _ZN9rocsparseL31bsrmm_large_blockdim_kernel_extILj16ELj16ELj2Ell21rocsparse_complex_numIdES2_S2_S2_EEvb20rocsparse_direction_T3_S4_llNS_24const_host_device_scalarIT7_EEPKT2_PKS4_PKT4_S4_PKT5_llS7_PT6_ll16rocsparse_order_21rocsparse_index_base_b
	.p2align	8
	.type	_ZN9rocsparseL31bsrmm_large_blockdim_kernel_extILj16ELj16ELj2Ell21rocsparse_complex_numIdES2_S2_S2_EEvb20rocsparse_direction_T3_S4_llNS_24const_host_device_scalarIT7_EEPKT2_PKS4_PKT4_S4_PKT5_llS7_PT6_ll16rocsparse_order_21rocsparse_index_base_b,@function
_ZN9rocsparseL31bsrmm_large_blockdim_kernel_extILj16ELj16ELj2Ell21rocsparse_complex_numIdES2_S2_S2_EEvb20rocsparse_direction_T3_S4_llNS_24const_host_device_scalarIT7_EEPKT2_PKS4_PKT4_S4_PKT5_llS7_PT6_ll16rocsparse_order_21rocsparse_index_base_b: ; @_ZN9rocsparseL31bsrmm_large_blockdim_kernel_extILj16ELj16ELj2Ell21rocsparse_complex_numIdES2_S2_S2_EEvb20rocsparse_direction_T3_S4_llNS_24const_host_device_scalarIT7_EEPKT2_PKS4_PKT4_S4_PKT5_llS7_PT6_ll16rocsparse_order_21rocsparse_index_base_b
; %bb.0:
	s_clause 0x1
	s_load_b96 s[16:18], s[0:1], 0x98
	s_load_b64 s[2:3], s[0:1], 0x28
	v_mov_b32_e32 v1, 0
	s_add_nc_u64 s[4:5], s[0:1], 40
	s_load_b64 s[6:7], s[0:1], 0x70
	s_wait_kmcnt 0x0
	s_bitcmp1_b32 s18, 0
	s_cselect_b32 s3, s5, s3
	s_cselect_b32 s2, s4, s2
	flat_load_b128 v[2:5], v1, s[2:3]
	s_wait_xcnt 0x0
	s_add_nc_u64 s[2:3], s[0:1], 0x70
	s_delay_alu instid0(SALU_CYCLE_1)
	s_cselect_b32 s3, s3, s7
	s_cselect_b32 s2, s2, s6
	flat_load_b128 v[6:9], v1, s[2:3]
	s_wait_loadcnt_dscnt 0x101
	v_cmp_eq_f64_e32 vcc_lo, 0, v[2:3]
	s_wait_xcnt 0x0
	v_cmp_eq_f64_e64 s2, 0, v[4:5]
	s_and_b32 s4, vcc_lo, s2
	s_mov_b32 s2, -1
	s_and_saveexec_b32 s3, s4
	s_cbranch_execz .LBB46_2
; %bb.1:
	s_wait_loadcnt_dscnt 0x0
	v_cmp_neq_f64_e32 vcc_lo, 1.0, v[6:7]
	v_cmp_neq_f64_e64 s2, 0, v[8:9]
	s_or_b32 s2, vcc_lo, s2
	s_delay_alu instid0(SALU_CYCLE_1)
	s_or_not1_b32 s2, s2, exec_lo
.LBB46_2:
	s_or_b32 exec_lo, exec_lo, s3
	s_and_saveexec_b32 s3, s2
	s_cbranch_execz .LBB46_48
; %bb.3:
	s_clause 0x1
	s_load_b128 s[4:7], s[0:1], 0x8
	s_load_b64 s[2:3], s[0:1], 0x38
	s_bfe_u32 s8, ttmp6, 0x4000c
	s_and_b32 s9, ttmp6, 15
	s_add_co_i32 s8, s8, 1
	s_getreg_b32 s10, hwreg(HW_REG_IB_STS2, 6, 4)
	s_mul_i32 s8, ttmp9, s8
	s_mov_b64 s[20:21], 0
	s_add_co_i32 s9, s9, s8
	s_cmp_eq_u32 s10, 0
	s_mov_b64 s[22:23], 0
	s_cselect_b32 s18, ttmp9, s9
	s_mov_b32 s9, 0
	s_ashr_i32 s19, s18, 31
	s_wait_kmcnt 0x0
	v_cmp_le_i64_e64 s8, s[4:5], s[18:19]
	v_cmp_gt_i64_e64 s33, s[4:5], s[18:19]
	s_and_b32 vcc_lo, exec_lo, s8
	s_cbranch_vccnz .LBB46_5
; %bb.4:
	s_lshl_b64 s[4:5], s[18:19], 3
	s_mov_b32 s8, s17
	s_add_nc_u64 s[4:5], s[2:3], s[4:5]
	s_load_b64 s[4:5], s[4:5], 0x0
	s_wait_kmcnt 0x0
	s_sub_nc_u64 s[22:23], s[4:5], s[8:9]
.LBB46_5:
	s_and_not1_b32 vcc_lo, exec_lo, s33
	s_cbranch_vccnz .LBB46_7
; %bb.6:
	s_lshl_b64 s[4:5], s[18:19], 3
	s_delay_alu instid0(SALU_CYCLE_1)
	s_add_nc_u64 s[2:3], s[2:3], s[4:5]
	s_mov_b32 s5, 0
	s_load_b64 s[2:3], s[2:3], 0x8
	s_mov_b32 s4, s17
	s_wait_kmcnt 0x0
	s_sub_nc_u64 s[20:21], s[2:3], s[4:5]
.LBB46_7:
	s_bfe_u32 s2, ttmp6, 0x40010
	s_clause 0x1
	s_load_b64 s[24:25], s[0:1], 0x50
	s_load_b64 s[26:27], s[0:1], 0x80
	s_add_co_i32 s2, s2, 1
	s_bfe_u32 s3, ttmp6, 0x40004
	s_mul_i32 s2, ttmp7, s2
	v_bfe_u32 v26, v0, 10, 10
	s_add_co_i32 s3, s3, s2
	s_cmp_eq_u32 s10, 0
	v_and_b32_e32 v10, 0x3ff, v0
	s_cselect_b32 s2, ttmp7, s3
	v_cmp_ge_i64_e64 s5, s[22:23], s[20:21]
	v_lshl_add_u32 v18, s2, 5, v26
	v_mov_b32_e32 v19, 0
	v_mov_b64_e32 v[20:21], 0
	v_mov_b64_e32 v[12:13], 0
	;; [unrolled: 1-line block ×3, first 2 shown]
	s_delay_alu instid0(VALU_DEP_4)
	v_dual_mov_b32 v1, v19 :: v_dual_add_nc_u32 v0, 16, v18
	v_mov_b32_e32 v11, v19
	v_cmp_gt_i64_e64 s3, s[6:7], v[18:19]
	v_mov_b64_e32 v[16:17], 0
	s_and_b32 vcc_lo, exec_lo, s5
	v_cmp_gt_i64_e64 s4, s[6:7], v[0:1]
	s_wait_kmcnt 0x0
	v_cmp_gt_i64_e64 s2, s[24:25], v[10:11]
	s_mov_b32 s29, 0
	s_cbranch_vccnz .LBB46_25
; %bb.8:
	v_dual_mov_b32 v27, v19 :: v_dual_lshlrev_b32 v32, 4, v26
	s_load_b128 s[8:11], s[0:1], 0x58
	v_mul_u64_e32 v[28:29], s[24:25], v[10:11]
	s_clause 0x1
	s_load_b128 s[12:15], s[0:1], 0x40
	s_load_b64 s[34:35], s[0:1], 0x0
	v_mul_u64_e32 v[30:31], s[24:25], v[26:27]
	v_cmp_gt_i64_e32 vcc_lo, s[24:25], v[26:27]
	v_dual_mov_b32 v41, v19 :: v_dual_lshlrev_b32 v40, 4, v10
	v_dual_mov_b32 v33, v19 :: v_dual_lshlrev_b32 v34, 8, v26
	v_lshl_add_u32 v35, v10, 8, 0x2000
	v_cmp_gt_i64_e64 s36, s[24:25], 0
	s_and_b32 s19, s2, vcc_lo
	v_mov_b64_e32 v[16:17], 0
	v_mov_b64_e32 v[14:15], 0
	;; [unrolled: 1-line block ×4, first 2 shown]
	v_add_nc_u32_e32 v39, 0x1000, v34
	s_mul_u64 s[30:31], s[24:25], s[24:25]
	s_mov_b32 s28, s17
	s_wait_kmcnt 0x0
	v_mul_u64_e32 v[22:23], s[10:11], v[18:19]
	v_mul_u64_e32 v[24:25], s[10:11], v[0:1]
	s_bitcmp1_b32 s34, 0
	s_cselect_b32 s5, -1, 0
	s_cmp_eq_u32 s35, 0
	s_cselect_b32 vcc_lo, -1, 0
	s_and_b32 s17, s3, s36
	s_and_b32 s34, s4, s36
	v_lshl_add_u64 v[26:27], v[28:29], 4, s[14:15]
	v_lshl_add_u64 v[28:29], v[30:31], 4, s[14:15]
	s_delay_alu instid0(VALU_DEP_2) | instskip(SKIP_1) | instid1(VALU_DEP_3)
	v_add_nc_u64_e32 v[30:31], v[26:27], v[32:33]
	v_add_nc_u64_e32 v[26:27], s[8:9], v[40:41]
	;; [unrolled: 1-line block ×3, first 2 shown]
	v_add_nc_u32_e32 v36, v34, v40
	s_delay_alu instid0(VALU_DEP_2) | instskip(NEXT) | instid1(VALU_DEP_2)
	v_dual_cndmask_b32 v28, v28, v30 :: v_dual_add_nc_u32 v37, v35, v32
	v_dual_cndmask_b32 v29, v29, v31 :: v_dual_add_nc_u32 v38, 0x1000, v36
	s_branch .LBB46_11
.LBB46_9:                               ;   in Loop: Header=BB46_11 Depth=1
	s_or_b32 exec_lo, exec_lo, s36
.LBB46_10:                              ;   in Loop: Header=BB46_11 Depth=1
	s_delay_alu instid0(SALU_CYCLE_1) | instskip(SKIP_1) | instid1(SALU_CYCLE_1)
	s_or_b32 exec_lo, exec_lo, s35
	s_add_nc_u64 s[22:23], s[22:23], 1
	v_cmp_ge_i64_e64 s14, s[22:23], s[20:21]
	s_barrier_signal -1
	s_barrier_wait -1
	s_and_b32 vcc_lo, exec_lo, s14
	s_cbranch_vccnz .LBB46_25
.LBB46_11:                              ; =>This Loop Header: Depth=1
                                        ;     Child Loop BB46_21 Depth 2
                                        ;     Child Loop BB46_24 Depth 2
	s_and_saveexec_b32 s14, s2
	s_cbranch_execz .LBB46_16
; %bb.12:                               ;   in Loop: Header=BB46_11 Depth=1
	s_lshl_b64 s[36:37], s[22:23], 3
	s_delay_alu instid0(SALU_CYCLE_1) | instskip(SKIP_3) | instid1(SALU_CYCLE_1)
	s_add_nc_u64 s[36:37], s[12:13], s[36:37]
	s_load_b64 s[36:37], s[36:37], 0x0
	s_wait_kmcnt 0x0
	s_sub_nc_u64 s[36:37], s[36:37], s[28:29]
	s_mul_u64 s[36:37], s[36:37], s[24:25]
	s_delay_alu instid0(SALU_CYCLE_1) | instskip(SKIP_1) | instid1(VALU_DEP_2)
	v_add_nc_u64_e32 v[30:31], s[36:37], v[10:11]
	v_lshl_add_u64 v[32:33], s[36:37], 4, v[26:27]
	v_mul_u64_e32 v[30:31], s[10:11], v[30:31]
	s_delay_alu instid0(VALU_DEP_1)
	v_lshl_add_u64 v[30:31], v[30:31], 4, s[8:9]
	s_and_saveexec_b32 s15, s3
	s_cbranch_execz .LBB46_14
; %bb.13:                               ;   in Loop: Header=BB46_11 Depth=1
	v_lshl_add_u64 v[40:41], v[22:23], 4, v[32:33]
	s_delay_alu instid0(VALU_DEP_2) | instskip(NEXT) | instid1(VALU_DEP_1)
	v_lshl_add_u64 v[42:43], v[18:19], 4, v[30:31]
	v_dual_cndmask_b32 v41, v43, v41, s5 :: v_dual_cndmask_b32 v40, v42, v40, s5
	global_load_b128 v[40:43], v[40:41], off
	s_wait_loadcnt 0x0
	ds_store_2addr_b64 v36, v[40:41], v[42:43] offset1:1
.LBB46_14:                              ;   in Loop: Header=BB46_11 Depth=1
	s_or_b32 exec_lo, exec_lo, s15
	s_delay_alu instid0(SALU_CYCLE_1)
	s_and_b32 exec_lo, exec_lo, s4
	s_cbranch_execz .LBB46_16
; %bb.15:                               ;   in Loop: Header=BB46_11 Depth=1
	v_lshl_add_u64 v[32:33], v[24:25], 4, v[32:33]
	v_lshl_add_u64 v[30:31], v[0:1], 4, v[30:31]
	s_delay_alu instid0(VALU_DEP_1)
	v_dual_cndmask_b32 v31, v31, v33, s5 :: v_dual_cndmask_b32 v30, v30, v32, s5
	global_load_b128 v[30:33], v[30:31], off
	s_wait_loadcnt 0x0
	ds_store_2addr_b64 v38, v[30:31], v[32:33] offset1:1
.LBB46_16:                              ;   in Loop: Header=BB46_11 Depth=1
	s_or_b32 exec_lo, exec_lo, s14
	s_and_saveexec_b32 s14, s19
	s_cbranch_execz .LBB46_18
; %bb.17:                               ;   in Loop: Header=BB46_11 Depth=1
	s_mul_u64 s[36:37], s[30:31], s[22:23]
	s_delay_alu instid0(SALU_CYCLE_1)
	v_lshl_add_u64 v[30:31], s[36:37], 4, v[28:29]
	global_load_b128 v[30:33], v[30:31], off
	s_wait_loadcnt 0x0
	ds_store_2addr_b64 v37, v[30:31], v[32:33] offset1:1
.LBB46_18:                              ;   in Loop: Header=BB46_11 Depth=1
	s_or_b32 exec_lo, exec_lo, s14
	s_wait_loadcnt_dscnt 0x0
	s_barrier_signal -1
	s_barrier_wait -1
	s_and_saveexec_b32 s35, s2
	s_cbranch_execz .LBB46_10
; %bb.19:                               ;   in Loop: Header=BB46_11 Depth=1
	s_and_saveexec_b32 s36, s17
	s_cbranch_execz .LBB46_22
; %bb.20:                               ;   in Loop: Header=BB46_11 Depth=1
	v_dual_mov_b32 v30, v35 :: v_dual_mov_b32 v31, v34
	s_mov_b64 s[14:15], s[24:25]
.LBB46_21:                              ;   Parent Loop BB46_11 Depth=1
                                        ; =>  This Inner Loop Header: Depth=2
	ds_load_b128 v[40:43], v30
	ds_load_b128 v[44:47], v31
	v_dual_add_nc_u32 v31, 16, v31 :: v_dual_add_nc_u32 v30, 16, v30
	s_add_nc_u64 s[14:15], s[14:15], -1
	s_delay_alu instid0(SALU_CYCLE_1) | instskip(SKIP_3) | instid1(VALU_DEP_2)
	s_cmp_lg_u64 s[14:15], 0
	s_wait_dscnt 0x0
	v_fmac_f64_e32 v[20:21], v[40:41], v[44:45]
	v_fmac_f64_e32 v[12:13], v[42:43], v[44:45]
	v_fma_f64 v[20:21], -v[42:43], v[46:47], v[20:21]
	s_delay_alu instid0(VALU_DEP_2)
	v_fmac_f64_e32 v[12:13], v[40:41], v[46:47]
	s_cbranch_scc1 .LBB46_21
.LBB46_22:                              ;   in Loop: Header=BB46_11 Depth=1
	s_or_b32 exec_lo, exec_lo, s36
	s_and_saveexec_b32 s36, s34
	s_cbranch_execz .LBB46_9
; %bb.23:                               ;   in Loop: Header=BB46_11 Depth=1
	v_dual_mov_b32 v30, v35 :: v_dual_mov_b32 v31, v39
	s_mov_b64 s[14:15], s[24:25]
.LBB46_24:                              ;   Parent Loop BB46_11 Depth=1
                                        ; =>  This Inner Loop Header: Depth=2
	ds_load_b128 v[40:43], v30
	ds_load_b128 v[44:47], v31
	v_dual_add_nc_u32 v31, 16, v31 :: v_dual_add_nc_u32 v30, 16, v30
	s_add_nc_u64 s[14:15], s[14:15], -1
	s_delay_alu instid0(SALU_CYCLE_1) | instskip(SKIP_3) | instid1(VALU_DEP_2)
	s_cmp_lg_u64 s[14:15], 0
	s_wait_dscnt 0x0
	v_fmac_f64_e32 v[14:15], v[40:41], v[44:45]
	v_fmac_f64_e32 v[16:17], v[42:43], v[44:45]
	v_fma_f64 v[14:15], -v[42:43], v[46:47], v[14:15]
	s_delay_alu instid0(VALU_DEP_2)
	v_fmac_f64_e32 v[16:17], v[40:41], v[46:47]
	s_cbranch_scc1 .LBB46_24
	s_branch .LBB46_9
.LBB46_25:
	s_and_b32 s2, s33, s2
	s_delay_alu instid0(SALU_CYCLE_1)
	s_and_b32 exec_lo, exec_lo, s2
	s_cbranch_execz .LBB46_48
; %bb.26:
	v_mad_nc_u64_u32 v[10:11], s24, s18, v[10:11]
	s_load_b64 s[2:3], s[0:1], 0x88
	s_wait_loadcnt_dscnt 0x0
	v_cmp_neq_f64_e32 vcc_lo, 0, v[6:7]
	s_wait_xcnt 0x0
	v_cmp_neq_f64_e64 s0, 0, v[8:9]
	s_mov_b32 s5, exec_lo
	v_mad_u32 v11, s25, s18, v11
	s_wait_kmcnt 0x0
	s_delay_alu instid0(VALU_DEP_1) | instskip(SKIP_3) | instid1(VALU_DEP_1)
	v_mul_u64_e32 v[22:23], s[2:3], v[10:11]
	s_or_b32 s0, vcc_lo, s0
	s_cmp_lg_u32 s16, 1
	s_cselect_b32 s4, -1, 0
	v_lshl_add_u64 v[24:25], v[22:23], 4, s[26:27]
	v_lshl_add_u64 v[22:23], v[10:11], 4, s[26:27]
	v_cmpx_gt_i64_e64 s[6:7], v[18:19]
	s_cbranch_execz .LBB46_37
; %bb.27:
	s_and_saveexec_b32 s1, s0
	s_delay_alu instid0(SALU_CYCLE_1)
	s_xor_b32 s1, exec_lo, s1
	s_cbranch_execz .LBB46_32
; %bb.28:
	s_and_b32 vcc_lo, exec_lo, s4
	s_mov_b32 s8, -1
	s_cbranch_vccz .LBB46_30
; %bb.29:
	v_lshl_add_u64 v[10:11], v[18:19], 4, v[24:25]
	v_mul_f64_e64 v[30:31], v[12:13], -v[4:5]
	v_mul_f64_e32 v[32:33], v[2:3], v[12:13]
	s_mov_b32 s8, 0
	global_load_b128 v[26:29], v[10:11], off
	v_fmac_f64_e32 v[30:31], v[2:3], v[20:21]
	v_fmac_f64_e32 v[32:33], v[4:5], v[20:21]
	s_wait_loadcnt 0x0
	s_delay_alu instid0(VALU_DEP_2) | instskip(NEXT) | instid1(VALU_DEP_2)
	v_fmac_f64_e32 v[30:31], v[6:7], v[26:27]
	v_fmac_f64_e32 v[32:33], v[8:9], v[26:27]
	s_delay_alu instid0(VALU_DEP_2) | instskip(NEXT) | instid1(VALU_DEP_2)
	v_fma_f64 v[30:31], -v[8:9], v[28:29], v[30:31]
	v_fmac_f64_e32 v[32:33], v[6:7], v[28:29]
	global_store_b128 v[10:11], v[30:33], off
.LBB46_30:
	s_and_not1_b32 vcc_lo, exec_lo, s8
	s_cbranch_vccnz .LBB46_32
; %bb.31:
	s_wait_xcnt 0x0
	v_mul_u64_e32 v[10:11], s[2:3], v[18:19]
	s_delay_alu instid0(VALU_DEP_1)
	v_lshl_add_u64 v[18:19], v[10:11], 4, v[22:23]
	v_mul_f64_e64 v[10:11], v[12:13], -v[4:5]
	v_mul_f64_e32 v[12:13], v[2:3], v[12:13]
	global_load_b128 v[26:29], v[18:19], off
	v_fmac_f64_e32 v[10:11], v[2:3], v[20:21]
	v_fmac_f64_e32 v[12:13], v[4:5], v[20:21]
                                        ; implicit-def: $vgpr20_vgpr21
	s_wait_loadcnt 0x0
	s_delay_alu instid0(VALU_DEP_2) | instskip(NEXT) | instid1(VALU_DEP_2)
	v_fmac_f64_e32 v[10:11], v[6:7], v[26:27]
	v_fmac_f64_e32 v[12:13], v[8:9], v[26:27]
	s_delay_alu instid0(VALU_DEP_2) | instskip(NEXT) | instid1(VALU_DEP_2)
	v_fma_f64 v[10:11], -v[8:9], v[28:29], v[10:11]
	v_fmac_f64_e32 v[12:13], v[6:7], v[28:29]
	global_store_b128 v[18:19], v[10:13], off
                                        ; implicit-def: $vgpr18_vgpr19
                                        ; implicit-def: $vgpr12_vgpr13
.LBB46_32:
	s_wait_xcnt 0x0
	s_and_not1_saveexec_b32 s1, s1
	s_cbranch_execz .LBB46_37
; %bb.33:
	v_mul_f64_e64 v[10:11], v[12:13], -v[4:5]
	v_mul_f64_e32 v[12:13], v[2:3], v[12:13]
	s_and_b32 vcc_lo, exec_lo, s4
	s_mov_b32 s1, -1
	s_delay_alu instid0(VALU_DEP_2) | instskip(NEXT) | instid1(VALU_DEP_2)
	v_fmac_f64_e32 v[10:11], v[2:3], v[20:21]
	v_fmac_f64_e32 v[12:13], v[4:5], v[20:21]
	s_cbranch_vccz .LBB46_35
; %bb.34:
	v_lshl_add_u64 v[20:21], v[18:19], 4, v[24:25]
	s_mov_b32 s1, 0
	global_store_b128 v[20:21], v[10:13], off
.LBB46_35:
	s_and_not1_b32 vcc_lo, exec_lo, s1
	s_cbranch_vccnz .LBB46_37
; %bb.36:
	v_mul_u64_e32 v[18:19], s[2:3], v[18:19]
	s_delay_alu instid0(VALU_DEP_1)
	v_lshl_add_u64 v[18:19], v[18:19], 4, v[22:23]
	global_store_b128 v[18:19], v[10:13], off
.LBB46_37:
	s_wait_xcnt 0x0
	s_or_b32 exec_lo, exec_lo, s5
	v_cmp_gt_i64_e32 vcc_lo, s[6:7], v[0:1]
	s_and_b32 exec_lo, exec_lo, vcc_lo
	s_cbranch_execz .LBB46_48
; %bb.38:
	v_cndmask_b32_e64 v10, 0, 1, s4
	s_and_saveexec_b32 s1, s0
	s_delay_alu instid0(SALU_CYCLE_1)
	s_xor_b32 s0, exec_lo, s1
	s_cbranch_execz .LBB46_43
; %bb.39:
	s_delay_alu instid0(VALU_DEP_1)
	v_cmp_ne_u32_e32 vcc_lo, 1, v10
	s_mov_b32 s1, -1
	s_cbranch_vccnz .LBB46_41
; %bb.40:
	v_lshl_add_u64 v[24:25], v[0:1], 4, v[24:25]
	v_mul_f64_e64 v[18:19], v[16:17], -v[4:5]
	v_mul_f64_e32 v[20:21], v[2:3], v[16:17]
	s_mov_b32 s1, 0
	global_load_b128 v[10:13], v[24:25], off
	v_fmac_f64_e32 v[18:19], v[2:3], v[14:15]
	v_fmac_f64_e32 v[20:21], v[4:5], v[14:15]
	s_wait_loadcnt 0x0
	s_delay_alu instid0(VALU_DEP_2) | instskip(NEXT) | instid1(VALU_DEP_2)
	v_fmac_f64_e32 v[18:19], v[6:7], v[10:11]
	v_fmac_f64_e32 v[20:21], v[8:9], v[10:11]
	s_delay_alu instid0(VALU_DEP_2) | instskip(NEXT) | instid1(VALU_DEP_2)
	v_fma_f64 v[18:19], -v[8:9], v[12:13], v[18:19]
	v_fmac_f64_e32 v[20:21], v[6:7], v[12:13]
	global_store_b128 v[24:25], v[18:21], off
.LBB46_41:
	s_and_not1_b32 vcc_lo, exec_lo, s1
                                        ; implicit-def: $vgpr10
                                        ; implicit-def: $vgpr24_vgpr25
	s_cbranch_vccnz .LBB46_43
; %bb.42:
	v_mul_u64_e32 v[0:1], s[2:3], v[0:1]
	s_wait_xcnt 0x0
	v_mul_f64_e64 v[18:19], v[16:17], -v[4:5]
	v_mul_f64_e32 v[16:17], v[2:3], v[16:17]
                                        ; implicit-def: $vgpr24_vgpr25
	s_delay_alu instid0(VALU_DEP_3) | instskip(NEXT) | instid1(VALU_DEP_3)
	v_lshl_add_u64 v[0:1], v[0:1], 4, v[22:23]
	v_fmac_f64_e32 v[18:19], v[2:3], v[14:15]
	s_delay_alu instid0(VALU_DEP_3) | instskip(SKIP_4) | instid1(VALU_DEP_2)
	v_fmac_f64_e32 v[16:17], v[4:5], v[14:15]
                                        ; implicit-def: $vgpr22_vgpr23
                                        ; implicit-def: $vgpr4_vgpr5
	global_load_b128 v[10:13], v[0:1], off
	s_wait_loadcnt 0x0
	v_fmac_f64_e32 v[18:19], v[6:7], v[10:11]
	v_fmac_f64_e32 v[16:17], v[8:9], v[10:11]
                                        ; implicit-def: $vgpr10
	v_fma_f64 v[14:15], -v[8:9], v[12:13], v[18:19]
	s_delay_alu instid0(VALU_DEP_2)
	v_fmac_f64_e32 v[16:17], v[6:7], v[12:13]
	global_store_b128 v[0:1], v[14:17], off
                                        ; implicit-def: $vgpr0_vgpr1
                                        ; implicit-def: $vgpr16_vgpr17
                                        ; implicit-def: $vgpr14_vgpr15
.LBB46_43:
	s_wait_xcnt 0x0
	s_and_not1_saveexec_b32 s0, s0
	s_cbranch_execz .LBB46_48
; %bb.44:
	v_mul_f64_e64 v[6:7], v[16:17], -v[4:5]
	v_mul_f64_e32 v[8:9], v[2:3], v[16:17]
	v_cmp_ne_u32_e32 vcc_lo, 1, v10
	s_mov_b32 s0, -1
	s_delay_alu instid0(VALU_DEP_3) | instskip(NEXT) | instid1(VALU_DEP_3)
	v_fmac_f64_e32 v[6:7], v[2:3], v[14:15]
	v_fmac_f64_e32 v[8:9], v[4:5], v[14:15]
	s_cbranch_vccnz .LBB46_46
; %bb.45:
	v_lshl_add_u64 v[2:3], v[0:1], 4, v[24:25]
	s_mov_b32 s0, 0
	global_store_b128 v[2:3], v[6:9], off
.LBB46_46:
	s_and_not1_b32 vcc_lo, exec_lo, s0
	s_cbranch_vccnz .LBB46_48
; %bb.47:
	v_mul_u64_e32 v[0:1], s[2:3], v[0:1]
	s_delay_alu instid0(VALU_DEP_1)
	v_lshl_add_u64 v[0:1], v[0:1], 4, v[22:23]
	global_store_b128 v[0:1], v[6:9], off
.LBB46_48:
	s_endpgm
	.section	.rodata,"a",@progbits
	.p2align	6, 0x0
	.amdhsa_kernel _ZN9rocsparseL31bsrmm_large_blockdim_kernel_extILj16ELj16ELj2Ell21rocsparse_complex_numIdES2_S2_S2_EEvb20rocsparse_direction_T3_S4_llNS_24const_host_device_scalarIT7_EEPKT2_PKS4_PKT4_S4_PKT5_llS7_PT6_ll16rocsparse_order_21rocsparse_index_base_b
		.amdhsa_group_segment_fixed_size 12288
		.amdhsa_private_segment_fixed_size 0
		.amdhsa_kernarg_size 164
		.amdhsa_user_sgpr_count 2
		.amdhsa_user_sgpr_dispatch_ptr 0
		.amdhsa_user_sgpr_queue_ptr 0
		.amdhsa_user_sgpr_kernarg_segment_ptr 1
		.amdhsa_user_sgpr_dispatch_id 0
		.amdhsa_user_sgpr_kernarg_preload_length 0
		.amdhsa_user_sgpr_kernarg_preload_offset 0
		.amdhsa_user_sgpr_private_segment_size 0
		.amdhsa_wavefront_size32 1
		.amdhsa_uses_dynamic_stack 0
		.amdhsa_enable_private_segment 0
		.amdhsa_system_sgpr_workgroup_id_x 1
		.amdhsa_system_sgpr_workgroup_id_y 1
		.amdhsa_system_sgpr_workgroup_id_z 0
		.amdhsa_system_sgpr_workgroup_info 0
		.amdhsa_system_vgpr_workitem_id 1
		.amdhsa_next_free_vgpr 48
		.amdhsa_next_free_sgpr 38
		.amdhsa_named_barrier_count 0
		.amdhsa_reserve_vcc 1
		.amdhsa_float_round_mode_32 0
		.amdhsa_float_round_mode_16_64 0
		.amdhsa_float_denorm_mode_32 3
		.amdhsa_float_denorm_mode_16_64 3
		.amdhsa_fp16_overflow 0
		.amdhsa_memory_ordered 1
		.amdhsa_forward_progress 1
		.amdhsa_inst_pref_size 17
		.amdhsa_round_robin_scheduling 0
		.amdhsa_exception_fp_ieee_invalid_op 0
		.amdhsa_exception_fp_denorm_src 0
		.amdhsa_exception_fp_ieee_div_zero 0
		.amdhsa_exception_fp_ieee_overflow 0
		.amdhsa_exception_fp_ieee_underflow 0
		.amdhsa_exception_fp_ieee_inexact 0
		.amdhsa_exception_int_div_zero 0
	.end_amdhsa_kernel
	.section	.text._ZN9rocsparseL31bsrmm_large_blockdim_kernel_extILj16ELj16ELj2Ell21rocsparse_complex_numIdES2_S2_S2_EEvb20rocsparse_direction_T3_S4_llNS_24const_host_device_scalarIT7_EEPKT2_PKS4_PKT4_S4_PKT5_llS7_PT6_ll16rocsparse_order_21rocsparse_index_base_b,"axG",@progbits,_ZN9rocsparseL31bsrmm_large_blockdim_kernel_extILj16ELj16ELj2Ell21rocsparse_complex_numIdES2_S2_S2_EEvb20rocsparse_direction_T3_S4_llNS_24const_host_device_scalarIT7_EEPKT2_PKS4_PKT4_S4_PKT5_llS7_PT6_ll16rocsparse_order_21rocsparse_index_base_b,comdat
.Lfunc_end46:
	.size	_ZN9rocsparseL31bsrmm_large_blockdim_kernel_extILj16ELj16ELj2Ell21rocsparse_complex_numIdES2_S2_S2_EEvb20rocsparse_direction_T3_S4_llNS_24const_host_device_scalarIT7_EEPKT2_PKS4_PKT4_S4_PKT5_llS7_PT6_ll16rocsparse_order_21rocsparse_index_base_b, .Lfunc_end46-_ZN9rocsparseL31bsrmm_large_blockdim_kernel_extILj16ELj16ELj2Ell21rocsparse_complex_numIdES2_S2_S2_EEvb20rocsparse_direction_T3_S4_llNS_24const_host_device_scalarIT7_EEPKT2_PKS4_PKT4_S4_PKT5_llS7_PT6_ll16rocsparse_order_21rocsparse_index_base_b
                                        ; -- End function
	.set _ZN9rocsparseL31bsrmm_large_blockdim_kernel_extILj16ELj16ELj2Ell21rocsparse_complex_numIdES2_S2_S2_EEvb20rocsparse_direction_T3_S4_llNS_24const_host_device_scalarIT7_EEPKT2_PKS4_PKT4_S4_PKT5_llS7_PT6_ll16rocsparse_order_21rocsparse_index_base_b.num_vgpr, 48
	.set _ZN9rocsparseL31bsrmm_large_blockdim_kernel_extILj16ELj16ELj2Ell21rocsparse_complex_numIdES2_S2_S2_EEvb20rocsparse_direction_T3_S4_llNS_24const_host_device_scalarIT7_EEPKT2_PKS4_PKT4_S4_PKT5_llS7_PT6_ll16rocsparse_order_21rocsparse_index_base_b.num_agpr, 0
	.set _ZN9rocsparseL31bsrmm_large_blockdim_kernel_extILj16ELj16ELj2Ell21rocsparse_complex_numIdES2_S2_S2_EEvb20rocsparse_direction_T3_S4_llNS_24const_host_device_scalarIT7_EEPKT2_PKS4_PKT4_S4_PKT5_llS7_PT6_ll16rocsparse_order_21rocsparse_index_base_b.numbered_sgpr, 38
	.set _ZN9rocsparseL31bsrmm_large_blockdim_kernel_extILj16ELj16ELj2Ell21rocsparse_complex_numIdES2_S2_S2_EEvb20rocsparse_direction_T3_S4_llNS_24const_host_device_scalarIT7_EEPKT2_PKS4_PKT4_S4_PKT5_llS7_PT6_ll16rocsparse_order_21rocsparse_index_base_b.num_named_barrier, 0
	.set _ZN9rocsparseL31bsrmm_large_blockdim_kernel_extILj16ELj16ELj2Ell21rocsparse_complex_numIdES2_S2_S2_EEvb20rocsparse_direction_T3_S4_llNS_24const_host_device_scalarIT7_EEPKT2_PKS4_PKT4_S4_PKT5_llS7_PT6_ll16rocsparse_order_21rocsparse_index_base_b.private_seg_size, 0
	.set _ZN9rocsparseL31bsrmm_large_blockdim_kernel_extILj16ELj16ELj2Ell21rocsparse_complex_numIdES2_S2_S2_EEvb20rocsparse_direction_T3_S4_llNS_24const_host_device_scalarIT7_EEPKT2_PKS4_PKT4_S4_PKT5_llS7_PT6_ll16rocsparse_order_21rocsparse_index_base_b.uses_vcc, 1
	.set _ZN9rocsparseL31bsrmm_large_blockdim_kernel_extILj16ELj16ELj2Ell21rocsparse_complex_numIdES2_S2_S2_EEvb20rocsparse_direction_T3_S4_llNS_24const_host_device_scalarIT7_EEPKT2_PKS4_PKT4_S4_PKT5_llS7_PT6_ll16rocsparse_order_21rocsparse_index_base_b.uses_flat_scratch, 0
	.set _ZN9rocsparseL31bsrmm_large_blockdim_kernel_extILj16ELj16ELj2Ell21rocsparse_complex_numIdES2_S2_S2_EEvb20rocsparse_direction_T3_S4_llNS_24const_host_device_scalarIT7_EEPKT2_PKS4_PKT4_S4_PKT5_llS7_PT6_ll16rocsparse_order_21rocsparse_index_base_b.has_dyn_sized_stack, 0
	.set _ZN9rocsparseL31bsrmm_large_blockdim_kernel_extILj16ELj16ELj2Ell21rocsparse_complex_numIdES2_S2_S2_EEvb20rocsparse_direction_T3_S4_llNS_24const_host_device_scalarIT7_EEPKT2_PKS4_PKT4_S4_PKT5_llS7_PT6_ll16rocsparse_order_21rocsparse_index_base_b.has_recursion, 0
	.set _ZN9rocsparseL31bsrmm_large_blockdim_kernel_extILj16ELj16ELj2Ell21rocsparse_complex_numIdES2_S2_S2_EEvb20rocsparse_direction_T3_S4_llNS_24const_host_device_scalarIT7_EEPKT2_PKS4_PKT4_S4_PKT5_llS7_PT6_ll16rocsparse_order_21rocsparse_index_base_b.has_indirect_call, 0
	.section	.AMDGPU.csdata,"",@progbits
; Kernel info:
; codeLenInByte = 2056
; TotalNumSgprs: 40
; NumVgprs: 48
; ScratchSize: 0
; MemoryBound: 0
; FloatMode: 240
; IeeeMode: 1
; LDSByteSize: 12288 bytes/workgroup (compile time only)
; SGPRBlocks: 0
; VGPRBlocks: 2
; NumSGPRsForWavesPerEU: 40
; NumVGPRsForWavesPerEU: 48
; NamedBarCnt: 0
; Occupancy: 16
; WaveLimiterHint : 1
; COMPUTE_PGM_RSRC2:SCRATCH_EN: 0
; COMPUTE_PGM_RSRC2:USER_SGPR: 2
; COMPUTE_PGM_RSRC2:TRAP_HANDLER: 0
; COMPUTE_PGM_RSRC2:TGID_X_EN: 1
; COMPUTE_PGM_RSRC2:TGID_Y_EN: 1
; COMPUTE_PGM_RSRC2:TGID_Z_EN: 0
; COMPUTE_PGM_RSRC2:TIDIG_COMP_CNT: 1
	.section	.text._ZN9rocsparseL31bsrmm_large_blockdim_kernel_extILj32ELj32ELj2Ell21rocsparse_complex_numIdES2_S2_S2_EEvb20rocsparse_direction_T3_S4_llNS_24const_host_device_scalarIT7_EEPKT2_PKS4_PKT4_S4_PKT5_llS7_PT6_ll16rocsparse_order_21rocsparse_index_base_b,"axG",@progbits,_ZN9rocsparseL31bsrmm_large_blockdim_kernel_extILj32ELj32ELj2Ell21rocsparse_complex_numIdES2_S2_S2_EEvb20rocsparse_direction_T3_S4_llNS_24const_host_device_scalarIT7_EEPKT2_PKS4_PKT4_S4_PKT5_llS7_PT6_ll16rocsparse_order_21rocsparse_index_base_b,comdat
	.globl	_ZN9rocsparseL31bsrmm_large_blockdim_kernel_extILj32ELj32ELj2Ell21rocsparse_complex_numIdES2_S2_S2_EEvb20rocsparse_direction_T3_S4_llNS_24const_host_device_scalarIT7_EEPKT2_PKS4_PKT4_S4_PKT5_llS7_PT6_ll16rocsparse_order_21rocsparse_index_base_b ; -- Begin function _ZN9rocsparseL31bsrmm_large_blockdim_kernel_extILj32ELj32ELj2Ell21rocsparse_complex_numIdES2_S2_S2_EEvb20rocsparse_direction_T3_S4_llNS_24const_host_device_scalarIT7_EEPKT2_PKS4_PKT4_S4_PKT5_llS7_PT6_ll16rocsparse_order_21rocsparse_index_base_b
	.p2align	8
	.type	_ZN9rocsparseL31bsrmm_large_blockdim_kernel_extILj32ELj32ELj2Ell21rocsparse_complex_numIdES2_S2_S2_EEvb20rocsparse_direction_T3_S4_llNS_24const_host_device_scalarIT7_EEPKT2_PKS4_PKT4_S4_PKT5_llS7_PT6_ll16rocsparse_order_21rocsparse_index_base_b,@function
_ZN9rocsparseL31bsrmm_large_blockdim_kernel_extILj32ELj32ELj2Ell21rocsparse_complex_numIdES2_S2_S2_EEvb20rocsparse_direction_T3_S4_llNS_24const_host_device_scalarIT7_EEPKT2_PKS4_PKT4_S4_PKT5_llS7_PT6_ll16rocsparse_order_21rocsparse_index_base_b: ; @_ZN9rocsparseL31bsrmm_large_blockdim_kernel_extILj32ELj32ELj2Ell21rocsparse_complex_numIdES2_S2_S2_EEvb20rocsparse_direction_T3_S4_llNS_24const_host_device_scalarIT7_EEPKT2_PKS4_PKT4_S4_PKT5_llS7_PT6_ll16rocsparse_order_21rocsparse_index_base_b
; %bb.0:
	s_clause 0x1
	s_load_b96 s[16:18], s[0:1], 0x98
	s_load_b64 s[2:3], s[0:1], 0x28
	v_mov_b32_e32 v1, 0
	s_add_nc_u64 s[4:5], s[0:1], 40
	s_load_b64 s[6:7], s[0:1], 0x70
	s_wait_kmcnt 0x0
	s_bitcmp1_b32 s18, 0
	s_cselect_b32 s3, s5, s3
	s_cselect_b32 s2, s4, s2
	flat_load_b128 v[2:5], v1, s[2:3]
	s_wait_xcnt 0x0
	s_add_nc_u64 s[2:3], s[0:1], 0x70
	s_delay_alu instid0(SALU_CYCLE_1)
	s_cselect_b32 s3, s3, s7
	s_cselect_b32 s2, s2, s6
	flat_load_b128 v[6:9], v1, s[2:3]
	s_wait_loadcnt_dscnt 0x101
	v_cmp_eq_f64_e32 vcc_lo, 0, v[2:3]
	s_wait_xcnt 0x0
	v_cmp_eq_f64_e64 s2, 0, v[4:5]
	s_and_b32 s4, vcc_lo, s2
	s_mov_b32 s2, -1
	s_and_saveexec_b32 s3, s4
	s_cbranch_execz .LBB47_2
; %bb.1:
	s_wait_loadcnt_dscnt 0x0
	v_cmp_neq_f64_e32 vcc_lo, 1.0, v[6:7]
	v_cmp_neq_f64_e64 s2, 0, v[8:9]
	s_or_b32 s2, vcc_lo, s2
	s_delay_alu instid0(SALU_CYCLE_1)
	s_or_not1_b32 s2, s2, exec_lo
.LBB47_2:
	s_or_b32 exec_lo, exec_lo, s3
	s_and_saveexec_b32 s3, s2
	s_cbranch_execz .LBB47_48
; %bb.3:
	s_clause 0x1
	s_load_b128 s[4:7], s[0:1], 0x8
	s_load_b64 s[2:3], s[0:1], 0x38
	s_bfe_u32 s8, ttmp6, 0x4000c
	s_and_b32 s9, ttmp6, 15
	s_add_co_i32 s8, s8, 1
	s_getreg_b32 s10, hwreg(HW_REG_IB_STS2, 6, 4)
	s_mul_i32 s8, ttmp9, s8
	s_mov_b64 s[20:21], 0
	s_add_co_i32 s9, s9, s8
	s_cmp_eq_u32 s10, 0
	s_mov_b64 s[22:23], 0
	s_cselect_b32 s18, ttmp9, s9
	s_mov_b32 s9, 0
	s_ashr_i32 s19, s18, 31
	s_wait_kmcnt 0x0
	v_cmp_le_i64_e64 s8, s[4:5], s[18:19]
	v_cmp_gt_i64_e64 s33, s[4:5], s[18:19]
	s_and_b32 vcc_lo, exec_lo, s8
	s_cbranch_vccnz .LBB47_5
; %bb.4:
	s_lshl_b64 s[4:5], s[18:19], 3
	s_mov_b32 s8, s17
	s_add_nc_u64 s[4:5], s[2:3], s[4:5]
	s_load_b64 s[4:5], s[4:5], 0x0
	s_wait_kmcnt 0x0
	s_sub_nc_u64 s[22:23], s[4:5], s[8:9]
.LBB47_5:
	s_and_not1_b32 vcc_lo, exec_lo, s33
	s_cbranch_vccnz .LBB47_7
; %bb.6:
	s_lshl_b64 s[4:5], s[18:19], 3
	s_delay_alu instid0(SALU_CYCLE_1)
	s_add_nc_u64 s[2:3], s[2:3], s[4:5]
	s_mov_b32 s5, 0
	s_load_b64 s[2:3], s[2:3], 0x8
	s_mov_b32 s4, s17
	s_wait_kmcnt 0x0
	s_sub_nc_u64 s[20:21], s[2:3], s[4:5]
.LBB47_7:
	s_bfe_u32 s2, ttmp6, 0x40010
	s_clause 0x1
	s_load_b64 s[24:25], s[0:1], 0x50
	s_load_b64 s[26:27], s[0:1], 0x80
	s_add_co_i32 s2, s2, 1
	s_bfe_u32 s3, ttmp6, 0x40004
	s_mul_i32 s2, ttmp7, s2
	v_bfe_u32 v26, v0, 10, 10
	s_add_co_i32 s3, s3, s2
	s_cmp_eq_u32 s10, 0
	v_and_b32_e32 v10, 0x3ff, v0
	s_cselect_b32 s2, ttmp7, s3
	v_cmp_ge_i64_e64 s5, s[22:23], s[20:21]
	v_lshl_add_u32 v18, s2, 6, v26
	v_mov_b32_e32 v19, 0
	v_mov_b64_e32 v[20:21], 0
	v_mov_b64_e32 v[12:13], 0
	;; [unrolled: 1-line block ×3, first 2 shown]
	s_delay_alu instid0(VALU_DEP_4)
	v_dual_mov_b32 v1, v19 :: v_dual_add_nc_u32 v0, 32, v18
	v_mov_b32_e32 v11, v19
	v_cmp_gt_i64_e64 s3, s[6:7], v[18:19]
	v_mov_b64_e32 v[16:17], 0
	s_and_b32 vcc_lo, exec_lo, s5
	v_cmp_gt_i64_e64 s4, s[6:7], v[0:1]
	s_wait_kmcnt 0x0
	v_cmp_gt_i64_e64 s2, s[24:25], v[10:11]
	s_mov_b32 s29, 0
	s_cbranch_vccnz .LBB47_25
; %bb.8:
	v_dual_mov_b32 v27, v19 :: v_dual_lshlrev_b32 v32, 4, v26
	s_load_b128 s[8:11], s[0:1], 0x58
	v_mul_u64_e32 v[28:29], s[24:25], v[10:11]
	s_clause 0x1
	s_load_b128 s[12:15], s[0:1], 0x40
	s_load_b64 s[34:35], s[0:1], 0x0
	v_mul_u64_e32 v[30:31], s[24:25], v[26:27]
	v_cmp_gt_i64_e32 vcc_lo, s[24:25], v[26:27]
	v_dual_mov_b32 v41, v19 :: v_dual_lshlrev_b32 v40, 4, v10
	v_dual_mov_b32 v33, v19 :: v_dual_lshlrev_b32 v34, 9, v26
	v_lshl_add_u32 v35, v10, 9, 0x8000
	v_cmp_gt_i64_e64 s36, s[24:25], 0
	s_and_b32 s19, s2, vcc_lo
	v_mov_b64_e32 v[16:17], 0
	v_mov_b64_e32 v[14:15], 0
	;; [unrolled: 1-line block ×4, first 2 shown]
	v_add_nc_u32_e32 v39, 0x4000, v34
	s_mul_u64 s[30:31], s[24:25], s[24:25]
	s_mov_b32 s28, s17
	s_wait_kmcnt 0x0
	v_mul_u64_e32 v[22:23], s[10:11], v[18:19]
	v_mul_u64_e32 v[24:25], s[10:11], v[0:1]
	s_bitcmp1_b32 s34, 0
	s_cselect_b32 s5, -1, 0
	s_cmp_eq_u32 s35, 0
	s_cselect_b32 vcc_lo, -1, 0
	s_and_b32 s17, s3, s36
	s_and_b32 s34, s4, s36
	v_lshl_add_u64 v[26:27], v[28:29], 4, s[14:15]
	v_lshl_add_u64 v[28:29], v[30:31], 4, s[14:15]
	s_delay_alu instid0(VALU_DEP_2) | instskip(SKIP_1) | instid1(VALU_DEP_3)
	v_add_nc_u64_e32 v[30:31], v[26:27], v[32:33]
	v_add_nc_u64_e32 v[26:27], s[8:9], v[40:41]
	;; [unrolled: 1-line block ×3, first 2 shown]
	v_add_nc_u32_e32 v36, v34, v40
	s_delay_alu instid0(VALU_DEP_2) | instskip(NEXT) | instid1(VALU_DEP_2)
	v_dual_cndmask_b32 v28, v28, v30 :: v_dual_add_nc_u32 v37, v35, v32
	v_dual_cndmask_b32 v29, v29, v31 :: v_dual_add_nc_u32 v38, 0x4000, v36
	s_branch .LBB47_11
.LBB47_9:                               ;   in Loop: Header=BB47_11 Depth=1
	s_or_b32 exec_lo, exec_lo, s36
.LBB47_10:                              ;   in Loop: Header=BB47_11 Depth=1
	s_delay_alu instid0(SALU_CYCLE_1) | instskip(SKIP_1) | instid1(SALU_CYCLE_1)
	s_or_b32 exec_lo, exec_lo, s35
	s_add_nc_u64 s[22:23], s[22:23], 1
	v_cmp_ge_i64_e64 s14, s[22:23], s[20:21]
	s_barrier_signal -1
	s_barrier_wait -1
	s_and_b32 vcc_lo, exec_lo, s14
	s_cbranch_vccnz .LBB47_25
.LBB47_11:                              ; =>This Loop Header: Depth=1
                                        ;     Child Loop BB47_21 Depth 2
                                        ;     Child Loop BB47_24 Depth 2
	s_and_saveexec_b32 s14, s2
	s_cbranch_execz .LBB47_16
; %bb.12:                               ;   in Loop: Header=BB47_11 Depth=1
	s_lshl_b64 s[36:37], s[22:23], 3
	s_delay_alu instid0(SALU_CYCLE_1) | instskip(SKIP_3) | instid1(SALU_CYCLE_1)
	s_add_nc_u64 s[36:37], s[12:13], s[36:37]
	s_load_b64 s[36:37], s[36:37], 0x0
	s_wait_kmcnt 0x0
	s_sub_nc_u64 s[36:37], s[36:37], s[28:29]
	s_mul_u64 s[36:37], s[36:37], s[24:25]
	s_delay_alu instid0(SALU_CYCLE_1) | instskip(SKIP_1) | instid1(VALU_DEP_2)
	v_add_nc_u64_e32 v[30:31], s[36:37], v[10:11]
	v_lshl_add_u64 v[32:33], s[36:37], 4, v[26:27]
	v_mul_u64_e32 v[30:31], s[10:11], v[30:31]
	s_delay_alu instid0(VALU_DEP_1)
	v_lshl_add_u64 v[30:31], v[30:31], 4, s[8:9]
	s_and_saveexec_b32 s15, s3
	s_cbranch_execz .LBB47_14
; %bb.13:                               ;   in Loop: Header=BB47_11 Depth=1
	v_lshl_add_u64 v[40:41], v[22:23], 4, v[32:33]
	s_delay_alu instid0(VALU_DEP_2) | instskip(NEXT) | instid1(VALU_DEP_1)
	v_lshl_add_u64 v[42:43], v[18:19], 4, v[30:31]
	v_dual_cndmask_b32 v41, v43, v41, s5 :: v_dual_cndmask_b32 v40, v42, v40, s5
	global_load_b128 v[40:43], v[40:41], off
	s_wait_loadcnt 0x0
	ds_store_2addr_b64 v36, v[40:41], v[42:43] offset1:1
.LBB47_14:                              ;   in Loop: Header=BB47_11 Depth=1
	s_or_b32 exec_lo, exec_lo, s15
	s_delay_alu instid0(SALU_CYCLE_1)
	s_and_b32 exec_lo, exec_lo, s4
	s_cbranch_execz .LBB47_16
; %bb.15:                               ;   in Loop: Header=BB47_11 Depth=1
	v_lshl_add_u64 v[32:33], v[24:25], 4, v[32:33]
	v_lshl_add_u64 v[30:31], v[0:1], 4, v[30:31]
	s_delay_alu instid0(VALU_DEP_1)
	v_dual_cndmask_b32 v31, v31, v33, s5 :: v_dual_cndmask_b32 v30, v30, v32, s5
	global_load_b128 v[30:33], v[30:31], off
	s_wait_loadcnt 0x0
	ds_store_2addr_b64 v38, v[30:31], v[32:33] offset1:1
.LBB47_16:                              ;   in Loop: Header=BB47_11 Depth=1
	s_or_b32 exec_lo, exec_lo, s14
	s_and_saveexec_b32 s14, s19
	s_cbranch_execz .LBB47_18
; %bb.17:                               ;   in Loop: Header=BB47_11 Depth=1
	s_mul_u64 s[36:37], s[30:31], s[22:23]
	s_delay_alu instid0(SALU_CYCLE_1)
	v_lshl_add_u64 v[30:31], s[36:37], 4, v[28:29]
	global_load_b128 v[30:33], v[30:31], off
	s_wait_loadcnt 0x0
	ds_store_2addr_b64 v37, v[30:31], v[32:33] offset1:1
.LBB47_18:                              ;   in Loop: Header=BB47_11 Depth=1
	s_or_b32 exec_lo, exec_lo, s14
	s_wait_loadcnt_dscnt 0x0
	s_barrier_signal -1
	s_barrier_wait -1
	s_and_saveexec_b32 s35, s2
	s_cbranch_execz .LBB47_10
; %bb.19:                               ;   in Loop: Header=BB47_11 Depth=1
	s_and_saveexec_b32 s36, s17
	s_cbranch_execz .LBB47_22
; %bb.20:                               ;   in Loop: Header=BB47_11 Depth=1
	v_dual_mov_b32 v30, v35 :: v_dual_mov_b32 v31, v34
	s_mov_b64 s[14:15], s[24:25]
.LBB47_21:                              ;   Parent Loop BB47_11 Depth=1
                                        ; =>  This Inner Loop Header: Depth=2
	ds_load_b128 v[40:43], v30
	ds_load_b128 v[44:47], v31
	v_dual_add_nc_u32 v31, 16, v31 :: v_dual_add_nc_u32 v30, 16, v30
	s_add_nc_u64 s[14:15], s[14:15], -1
	s_delay_alu instid0(SALU_CYCLE_1) | instskip(SKIP_3) | instid1(VALU_DEP_2)
	s_cmp_lg_u64 s[14:15], 0
	s_wait_dscnt 0x0
	v_fmac_f64_e32 v[20:21], v[40:41], v[44:45]
	v_fmac_f64_e32 v[12:13], v[42:43], v[44:45]
	v_fma_f64 v[20:21], -v[42:43], v[46:47], v[20:21]
	s_delay_alu instid0(VALU_DEP_2)
	v_fmac_f64_e32 v[12:13], v[40:41], v[46:47]
	s_cbranch_scc1 .LBB47_21
.LBB47_22:                              ;   in Loop: Header=BB47_11 Depth=1
	s_or_b32 exec_lo, exec_lo, s36
	s_and_saveexec_b32 s36, s34
	s_cbranch_execz .LBB47_9
; %bb.23:                               ;   in Loop: Header=BB47_11 Depth=1
	v_dual_mov_b32 v30, v35 :: v_dual_mov_b32 v31, v39
	s_mov_b64 s[14:15], s[24:25]
.LBB47_24:                              ;   Parent Loop BB47_11 Depth=1
                                        ; =>  This Inner Loop Header: Depth=2
	ds_load_b128 v[40:43], v30
	ds_load_b128 v[44:47], v31
	v_dual_add_nc_u32 v31, 16, v31 :: v_dual_add_nc_u32 v30, 16, v30
	s_add_nc_u64 s[14:15], s[14:15], -1
	s_delay_alu instid0(SALU_CYCLE_1) | instskip(SKIP_3) | instid1(VALU_DEP_2)
	s_cmp_lg_u64 s[14:15], 0
	s_wait_dscnt 0x0
	v_fmac_f64_e32 v[14:15], v[40:41], v[44:45]
	v_fmac_f64_e32 v[16:17], v[42:43], v[44:45]
	v_fma_f64 v[14:15], -v[42:43], v[46:47], v[14:15]
	s_delay_alu instid0(VALU_DEP_2)
	v_fmac_f64_e32 v[16:17], v[40:41], v[46:47]
	s_cbranch_scc1 .LBB47_24
	s_branch .LBB47_9
.LBB47_25:
	s_and_b32 s2, s33, s2
	s_delay_alu instid0(SALU_CYCLE_1)
	s_and_b32 exec_lo, exec_lo, s2
	s_cbranch_execz .LBB47_48
; %bb.26:
	v_mad_nc_u64_u32 v[10:11], s24, s18, v[10:11]
	s_load_b64 s[2:3], s[0:1], 0x88
	s_wait_loadcnt_dscnt 0x0
	v_cmp_neq_f64_e32 vcc_lo, 0, v[6:7]
	s_wait_xcnt 0x0
	v_cmp_neq_f64_e64 s0, 0, v[8:9]
	s_mov_b32 s5, exec_lo
	v_mad_u32 v11, s25, s18, v11
	s_wait_kmcnt 0x0
	s_delay_alu instid0(VALU_DEP_1) | instskip(SKIP_3) | instid1(VALU_DEP_1)
	v_mul_u64_e32 v[22:23], s[2:3], v[10:11]
	s_or_b32 s0, vcc_lo, s0
	s_cmp_lg_u32 s16, 1
	s_cselect_b32 s4, -1, 0
	v_lshl_add_u64 v[24:25], v[22:23], 4, s[26:27]
	v_lshl_add_u64 v[22:23], v[10:11], 4, s[26:27]
	v_cmpx_gt_i64_e64 s[6:7], v[18:19]
	s_cbranch_execz .LBB47_37
; %bb.27:
	s_and_saveexec_b32 s1, s0
	s_delay_alu instid0(SALU_CYCLE_1)
	s_xor_b32 s1, exec_lo, s1
	s_cbranch_execz .LBB47_32
; %bb.28:
	s_and_b32 vcc_lo, exec_lo, s4
	s_mov_b32 s8, -1
	s_cbranch_vccz .LBB47_30
; %bb.29:
	v_lshl_add_u64 v[10:11], v[18:19], 4, v[24:25]
	v_mul_f64_e64 v[30:31], v[12:13], -v[4:5]
	v_mul_f64_e32 v[32:33], v[2:3], v[12:13]
	s_mov_b32 s8, 0
	global_load_b128 v[26:29], v[10:11], off
	v_fmac_f64_e32 v[30:31], v[2:3], v[20:21]
	v_fmac_f64_e32 v[32:33], v[4:5], v[20:21]
	s_wait_loadcnt 0x0
	s_delay_alu instid0(VALU_DEP_2) | instskip(NEXT) | instid1(VALU_DEP_2)
	v_fmac_f64_e32 v[30:31], v[6:7], v[26:27]
	v_fmac_f64_e32 v[32:33], v[8:9], v[26:27]
	s_delay_alu instid0(VALU_DEP_2) | instskip(NEXT) | instid1(VALU_DEP_2)
	v_fma_f64 v[30:31], -v[8:9], v[28:29], v[30:31]
	v_fmac_f64_e32 v[32:33], v[6:7], v[28:29]
	global_store_b128 v[10:11], v[30:33], off
.LBB47_30:
	s_and_not1_b32 vcc_lo, exec_lo, s8
	s_cbranch_vccnz .LBB47_32
; %bb.31:
	s_wait_xcnt 0x0
	v_mul_u64_e32 v[10:11], s[2:3], v[18:19]
	s_delay_alu instid0(VALU_DEP_1)
	v_lshl_add_u64 v[18:19], v[10:11], 4, v[22:23]
	v_mul_f64_e64 v[10:11], v[12:13], -v[4:5]
	v_mul_f64_e32 v[12:13], v[2:3], v[12:13]
	global_load_b128 v[26:29], v[18:19], off
	v_fmac_f64_e32 v[10:11], v[2:3], v[20:21]
	v_fmac_f64_e32 v[12:13], v[4:5], v[20:21]
                                        ; implicit-def: $vgpr20_vgpr21
	s_wait_loadcnt 0x0
	s_delay_alu instid0(VALU_DEP_2) | instskip(NEXT) | instid1(VALU_DEP_2)
	v_fmac_f64_e32 v[10:11], v[6:7], v[26:27]
	v_fmac_f64_e32 v[12:13], v[8:9], v[26:27]
	s_delay_alu instid0(VALU_DEP_2) | instskip(NEXT) | instid1(VALU_DEP_2)
	v_fma_f64 v[10:11], -v[8:9], v[28:29], v[10:11]
	v_fmac_f64_e32 v[12:13], v[6:7], v[28:29]
	global_store_b128 v[18:19], v[10:13], off
                                        ; implicit-def: $vgpr18_vgpr19
                                        ; implicit-def: $vgpr12_vgpr13
.LBB47_32:
	s_wait_xcnt 0x0
	s_and_not1_saveexec_b32 s1, s1
	s_cbranch_execz .LBB47_37
; %bb.33:
	v_mul_f64_e64 v[10:11], v[12:13], -v[4:5]
	v_mul_f64_e32 v[12:13], v[2:3], v[12:13]
	s_and_b32 vcc_lo, exec_lo, s4
	s_mov_b32 s1, -1
	s_delay_alu instid0(VALU_DEP_2) | instskip(NEXT) | instid1(VALU_DEP_2)
	v_fmac_f64_e32 v[10:11], v[2:3], v[20:21]
	v_fmac_f64_e32 v[12:13], v[4:5], v[20:21]
	s_cbranch_vccz .LBB47_35
; %bb.34:
	v_lshl_add_u64 v[20:21], v[18:19], 4, v[24:25]
	s_mov_b32 s1, 0
	global_store_b128 v[20:21], v[10:13], off
.LBB47_35:
	s_and_not1_b32 vcc_lo, exec_lo, s1
	s_cbranch_vccnz .LBB47_37
; %bb.36:
	v_mul_u64_e32 v[18:19], s[2:3], v[18:19]
	s_delay_alu instid0(VALU_DEP_1)
	v_lshl_add_u64 v[18:19], v[18:19], 4, v[22:23]
	global_store_b128 v[18:19], v[10:13], off
.LBB47_37:
	s_wait_xcnt 0x0
	s_or_b32 exec_lo, exec_lo, s5
	v_cmp_gt_i64_e32 vcc_lo, s[6:7], v[0:1]
	s_and_b32 exec_lo, exec_lo, vcc_lo
	s_cbranch_execz .LBB47_48
; %bb.38:
	v_cndmask_b32_e64 v10, 0, 1, s4
	s_and_saveexec_b32 s1, s0
	s_delay_alu instid0(SALU_CYCLE_1)
	s_xor_b32 s0, exec_lo, s1
	s_cbranch_execz .LBB47_43
; %bb.39:
	s_delay_alu instid0(VALU_DEP_1)
	v_cmp_ne_u32_e32 vcc_lo, 1, v10
	s_mov_b32 s1, -1
	s_cbranch_vccnz .LBB47_41
; %bb.40:
	v_lshl_add_u64 v[24:25], v[0:1], 4, v[24:25]
	v_mul_f64_e64 v[18:19], v[16:17], -v[4:5]
	v_mul_f64_e32 v[20:21], v[2:3], v[16:17]
	s_mov_b32 s1, 0
	global_load_b128 v[10:13], v[24:25], off
	v_fmac_f64_e32 v[18:19], v[2:3], v[14:15]
	v_fmac_f64_e32 v[20:21], v[4:5], v[14:15]
	s_wait_loadcnt 0x0
	s_delay_alu instid0(VALU_DEP_2) | instskip(NEXT) | instid1(VALU_DEP_2)
	v_fmac_f64_e32 v[18:19], v[6:7], v[10:11]
	v_fmac_f64_e32 v[20:21], v[8:9], v[10:11]
	s_delay_alu instid0(VALU_DEP_2) | instskip(NEXT) | instid1(VALU_DEP_2)
	v_fma_f64 v[18:19], -v[8:9], v[12:13], v[18:19]
	v_fmac_f64_e32 v[20:21], v[6:7], v[12:13]
	global_store_b128 v[24:25], v[18:21], off
.LBB47_41:
	s_and_not1_b32 vcc_lo, exec_lo, s1
                                        ; implicit-def: $vgpr10
                                        ; implicit-def: $vgpr24_vgpr25
	s_cbranch_vccnz .LBB47_43
; %bb.42:
	v_mul_u64_e32 v[0:1], s[2:3], v[0:1]
	s_wait_xcnt 0x0
	v_mul_f64_e64 v[18:19], v[16:17], -v[4:5]
	v_mul_f64_e32 v[16:17], v[2:3], v[16:17]
                                        ; implicit-def: $vgpr24_vgpr25
	s_delay_alu instid0(VALU_DEP_3) | instskip(NEXT) | instid1(VALU_DEP_3)
	v_lshl_add_u64 v[0:1], v[0:1], 4, v[22:23]
	v_fmac_f64_e32 v[18:19], v[2:3], v[14:15]
	s_delay_alu instid0(VALU_DEP_3) | instskip(SKIP_4) | instid1(VALU_DEP_2)
	v_fmac_f64_e32 v[16:17], v[4:5], v[14:15]
                                        ; implicit-def: $vgpr22_vgpr23
                                        ; implicit-def: $vgpr4_vgpr5
	global_load_b128 v[10:13], v[0:1], off
	s_wait_loadcnt 0x0
	v_fmac_f64_e32 v[18:19], v[6:7], v[10:11]
	v_fmac_f64_e32 v[16:17], v[8:9], v[10:11]
                                        ; implicit-def: $vgpr10
	v_fma_f64 v[14:15], -v[8:9], v[12:13], v[18:19]
	s_delay_alu instid0(VALU_DEP_2)
	v_fmac_f64_e32 v[16:17], v[6:7], v[12:13]
	global_store_b128 v[0:1], v[14:17], off
                                        ; implicit-def: $vgpr0_vgpr1
                                        ; implicit-def: $vgpr16_vgpr17
                                        ; implicit-def: $vgpr14_vgpr15
.LBB47_43:
	s_wait_xcnt 0x0
	s_and_not1_saveexec_b32 s0, s0
	s_cbranch_execz .LBB47_48
; %bb.44:
	v_mul_f64_e64 v[6:7], v[16:17], -v[4:5]
	v_mul_f64_e32 v[8:9], v[2:3], v[16:17]
	v_cmp_ne_u32_e32 vcc_lo, 1, v10
	s_mov_b32 s0, -1
	s_delay_alu instid0(VALU_DEP_3) | instskip(NEXT) | instid1(VALU_DEP_3)
	v_fmac_f64_e32 v[6:7], v[2:3], v[14:15]
	v_fmac_f64_e32 v[8:9], v[4:5], v[14:15]
	s_cbranch_vccnz .LBB47_46
; %bb.45:
	v_lshl_add_u64 v[2:3], v[0:1], 4, v[24:25]
	s_mov_b32 s0, 0
	global_store_b128 v[2:3], v[6:9], off
.LBB47_46:
	s_and_not1_b32 vcc_lo, exec_lo, s0
	s_cbranch_vccnz .LBB47_48
; %bb.47:
	v_mul_u64_e32 v[0:1], s[2:3], v[0:1]
	s_delay_alu instid0(VALU_DEP_1)
	v_lshl_add_u64 v[0:1], v[0:1], 4, v[22:23]
	global_store_b128 v[0:1], v[6:9], off
.LBB47_48:
	s_endpgm
	.section	.rodata,"a",@progbits
	.p2align	6, 0x0
	.amdhsa_kernel _ZN9rocsparseL31bsrmm_large_blockdim_kernel_extILj32ELj32ELj2Ell21rocsparse_complex_numIdES2_S2_S2_EEvb20rocsparse_direction_T3_S4_llNS_24const_host_device_scalarIT7_EEPKT2_PKS4_PKT4_S4_PKT5_llS7_PT6_ll16rocsparse_order_21rocsparse_index_base_b
		.amdhsa_group_segment_fixed_size 49152
		.amdhsa_private_segment_fixed_size 0
		.amdhsa_kernarg_size 164
		.amdhsa_user_sgpr_count 2
		.amdhsa_user_sgpr_dispatch_ptr 0
		.amdhsa_user_sgpr_queue_ptr 0
		.amdhsa_user_sgpr_kernarg_segment_ptr 1
		.amdhsa_user_sgpr_dispatch_id 0
		.amdhsa_user_sgpr_kernarg_preload_length 0
		.amdhsa_user_sgpr_kernarg_preload_offset 0
		.amdhsa_user_sgpr_private_segment_size 0
		.amdhsa_wavefront_size32 1
		.amdhsa_uses_dynamic_stack 0
		.amdhsa_enable_private_segment 0
		.amdhsa_system_sgpr_workgroup_id_x 1
		.amdhsa_system_sgpr_workgroup_id_y 1
		.amdhsa_system_sgpr_workgroup_id_z 0
		.amdhsa_system_sgpr_workgroup_info 0
		.amdhsa_system_vgpr_workitem_id 1
		.amdhsa_next_free_vgpr 48
		.amdhsa_next_free_sgpr 38
		.amdhsa_named_barrier_count 0
		.amdhsa_reserve_vcc 1
		.amdhsa_float_round_mode_32 0
		.amdhsa_float_round_mode_16_64 0
		.amdhsa_float_denorm_mode_32 3
		.amdhsa_float_denorm_mode_16_64 3
		.amdhsa_fp16_overflow 0
		.amdhsa_memory_ordered 1
		.amdhsa_forward_progress 1
		.amdhsa_inst_pref_size 17
		.amdhsa_round_robin_scheduling 0
		.amdhsa_exception_fp_ieee_invalid_op 0
		.amdhsa_exception_fp_denorm_src 0
		.amdhsa_exception_fp_ieee_div_zero 0
		.amdhsa_exception_fp_ieee_overflow 0
		.amdhsa_exception_fp_ieee_underflow 0
		.amdhsa_exception_fp_ieee_inexact 0
		.amdhsa_exception_int_div_zero 0
	.end_amdhsa_kernel
	.section	.text._ZN9rocsparseL31bsrmm_large_blockdim_kernel_extILj32ELj32ELj2Ell21rocsparse_complex_numIdES2_S2_S2_EEvb20rocsparse_direction_T3_S4_llNS_24const_host_device_scalarIT7_EEPKT2_PKS4_PKT4_S4_PKT5_llS7_PT6_ll16rocsparse_order_21rocsparse_index_base_b,"axG",@progbits,_ZN9rocsparseL31bsrmm_large_blockdim_kernel_extILj32ELj32ELj2Ell21rocsparse_complex_numIdES2_S2_S2_EEvb20rocsparse_direction_T3_S4_llNS_24const_host_device_scalarIT7_EEPKT2_PKS4_PKT4_S4_PKT5_llS7_PT6_ll16rocsparse_order_21rocsparse_index_base_b,comdat
.Lfunc_end47:
	.size	_ZN9rocsparseL31bsrmm_large_blockdim_kernel_extILj32ELj32ELj2Ell21rocsparse_complex_numIdES2_S2_S2_EEvb20rocsparse_direction_T3_S4_llNS_24const_host_device_scalarIT7_EEPKT2_PKS4_PKT4_S4_PKT5_llS7_PT6_ll16rocsparse_order_21rocsparse_index_base_b, .Lfunc_end47-_ZN9rocsparseL31bsrmm_large_blockdim_kernel_extILj32ELj32ELj2Ell21rocsparse_complex_numIdES2_S2_S2_EEvb20rocsparse_direction_T3_S4_llNS_24const_host_device_scalarIT7_EEPKT2_PKS4_PKT4_S4_PKT5_llS7_PT6_ll16rocsparse_order_21rocsparse_index_base_b
                                        ; -- End function
	.set _ZN9rocsparseL31bsrmm_large_blockdim_kernel_extILj32ELj32ELj2Ell21rocsparse_complex_numIdES2_S2_S2_EEvb20rocsparse_direction_T3_S4_llNS_24const_host_device_scalarIT7_EEPKT2_PKS4_PKT4_S4_PKT5_llS7_PT6_ll16rocsparse_order_21rocsparse_index_base_b.num_vgpr, 48
	.set _ZN9rocsparseL31bsrmm_large_blockdim_kernel_extILj32ELj32ELj2Ell21rocsparse_complex_numIdES2_S2_S2_EEvb20rocsparse_direction_T3_S4_llNS_24const_host_device_scalarIT7_EEPKT2_PKS4_PKT4_S4_PKT5_llS7_PT6_ll16rocsparse_order_21rocsparse_index_base_b.num_agpr, 0
	.set _ZN9rocsparseL31bsrmm_large_blockdim_kernel_extILj32ELj32ELj2Ell21rocsparse_complex_numIdES2_S2_S2_EEvb20rocsparse_direction_T3_S4_llNS_24const_host_device_scalarIT7_EEPKT2_PKS4_PKT4_S4_PKT5_llS7_PT6_ll16rocsparse_order_21rocsparse_index_base_b.numbered_sgpr, 38
	.set _ZN9rocsparseL31bsrmm_large_blockdim_kernel_extILj32ELj32ELj2Ell21rocsparse_complex_numIdES2_S2_S2_EEvb20rocsparse_direction_T3_S4_llNS_24const_host_device_scalarIT7_EEPKT2_PKS4_PKT4_S4_PKT5_llS7_PT6_ll16rocsparse_order_21rocsparse_index_base_b.num_named_barrier, 0
	.set _ZN9rocsparseL31bsrmm_large_blockdim_kernel_extILj32ELj32ELj2Ell21rocsparse_complex_numIdES2_S2_S2_EEvb20rocsparse_direction_T3_S4_llNS_24const_host_device_scalarIT7_EEPKT2_PKS4_PKT4_S4_PKT5_llS7_PT6_ll16rocsparse_order_21rocsparse_index_base_b.private_seg_size, 0
	.set _ZN9rocsparseL31bsrmm_large_blockdim_kernel_extILj32ELj32ELj2Ell21rocsparse_complex_numIdES2_S2_S2_EEvb20rocsparse_direction_T3_S4_llNS_24const_host_device_scalarIT7_EEPKT2_PKS4_PKT4_S4_PKT5_llS7_PT6_ll16rocsparse_order_21rocsparse_index_base_b.uses_vcc, 1
	.set _ZN9rocsparseL31bsrmm_large_blockdim_kernel_extILj32ELj32ELj2Ell21rocsparse_complex_numIdES2_S2_S2_EEvb20rocsparse_direction_T3_S4_llNS_24const_host_device_scalarIT7_EEPKT2_PKS4_PKT4_S4_PKT5_llS7_PT6_ll16rocsparse_order_21rocsparse_index_base_b.uses_flat_scratch, 0
	.set _ZN9rocsparseL31bsrmm_large_blockdim_kernel_extILj32ELj32ELj2Ell21rocsparse_complex_numIdES2_S2_S2_EEvb20rocsparse_direction_T3_S4_llNS_24const_host_device_scalarIT7_EEPKT2_PKS4_PKT4_S4_PKT5_llS7_PT6_ll16rocsparse_order_21rocsparse_index_base_b.has_dyn_sized_stack, 0
	.set _ZN9rocsparseL31bsrmm_large_blockdim_kernel_extILj32ELj32ELj2Ell21rocsparse_complex_numIdES2_S2_S2_EEvb20rocsparse_direction_T3_S4_llNS_24const_host_device_scalarIT7_EEPKT2_PKS4_PKT4_S4_PKT5_llS7_PT6_ll16rocsparse_order_21rocsparse_index_base_b.has_recursion, 0
	.set _ZN9rocsparseL31bsrmm_large_blockdim_kernel_extILj32ELj32ELj2Ell21rocsparse_complex_numIdES2_S2_S2_EEvb20rocsparse_direction_T3_S4_llNS_24const_host_device_scalarIT7_EEPKT2_PKS4_PKT4_S4_PKT5_llS7_PT6_ll16rocsparse_order_21rocsparse_index_base_b.has_indirect_call, 0
	.section	.AMDGPU.csdata,"",@progbits
; Kernel info:
; codeLenInByte = 2056
; TotalNumSgprs: 40
; NumVgprs: 48
; ScratchSize: 0
; MemoryBound: 0
; FloatMode: 240
; IeeeMode: 1
; LDSByteSize: 49152 bytes/workgroup (compile time only)
; SGPRBlocks: 0
; VGPRBlocks: 2
; NumSGPRsForWavesPerEU: 40
; NumVGPRsForWavesPerEU: 48
; NamedBarCnt: 0
; Occupancy: 16
; WaveLimiterHint : 1
; COMPUTE_PGM_RSRC2:SCRATCH_EN: 0
; COMPUTE_PGM_RSRC2:USER_SGPR: 2
; COMPUTE_PGM_RSRC2:TRAP_HANDLER: 0
; COMPUTE_PGM_RSRC2:TGID_X_EN: 1
; COMPUTE_PGM_RSRC2:TGID_Y_EN: 1
; COMPUTE_PGM_RSRC2:TGID_Z_EN: 0
; COMPUTE_PGM_RSRC2:TIDIG_COMP_CNT: 1
	.section	.text._ZN9rocsparseL31bsrmm_large_blockdim_kernel_extILj8ELj8ELj2EiiDF16_DF16_ffEEvb20rocsparse_direction_T3_S2_llNS_24const_host_device_scalarIT7_EEPKT2_PKS2_PKT4_S2_PKT5_llS5_PT6_ll16rocsparse_order_21rocsparse_index_base_b,"axG",@progbits,_ZN9rocsparseL31bsrmm_large_blockdim_kernel_extILj8ELj8ELj2EiiDF16_DF16_ffEEvb20rocsparse_direction_T3_S2_llNS_24const_host_device_scalarIT7_EEPKT2_PKS2_PKT4_S2_PKT5_llS5_PT6_ll16rocsparse_order_21rocsparse_index_base_b,comdat
	.globl	_ZN9rocsparseL31bsrmm_large_blockdim_kernel_extILj8ELj8ELj2EiiDF16_DF16_ffEEvb20rocsparse_direction_T3_S2_llNS_24const_host_device_scalarIT7_EEPKT2_PKS2_PKT4_S2_PKT5_llS5_PT6_ll16rocsparse_order_21rocsparse_index_base_b ; -- Begin function _ZN9rocsparseL31bsrmm_large_blockdim_kernel_extILj8ELj8ELj2EiiDF16_DF16_ffEEvb20rocsparse_direction_T3_S2_llNS_24const_host_device_scalarIT7_EEPKT2_PKS2_PKT4_S2_PKT5_llS5_PT6_ll16rocsparse_order_21rocsparse_index_base_b
	.p2align	8
	.type	_ZN9rocsparseL31bsrmm_large_blockdim_kernel_extILj8ELj8ELj2EiiDF16_DF16_ffEEvb20rocsparse_direction_T3_S2_llNS_24const_host_device_scalarIT7_EEPKT2_PKS2_PKT4_S2_PKT5_llS5_PT6_ll16rocsparse_order_21rocsparse_index_base_b,@function
_ZN9rocsparseL31bsrmm_large_blockdim_kernel_extILj8ELj8ELj2EiiDF16_DF16_ffEEvb20rocsparse_direction_T3_S2_llNS_24const_host_device_scalarIT7_EEPKT2_PKS2_PKT4_S2_PKT5_llS5_PT6_ll16rocsparse_order_21rocsparse_index_base_b: ; @_ZN9rocsparseL31bsrmm_large_blockdim_kernel_extILj8ELj8ELj2EiiDF16_DF16_ffEEvb20rocsparse_direction_T3_S2_llNS_24const_host_device_scalarIT7_EEPKT2_PKS2_PKT4_S2_PKT5_llS5_PT6_ll16rocsparse_order_21rocsparse_index_base_b
; %bb.0:
	s_clause 0x2
	s_load_b96 s[20:22], s[0:1], 0x80
	s_load_b64 s[6:7], s[0:1], 0x20
	s_load_b64 s[24:25], s[0:1], 0x60
	s_wait_kmcnt 0x0
	s_bitcmp1_b32 s22, 0
	s_cselect_b32 s2, -1, 0
	s_delay_alu instid0(SALU_CYCLE_1)
	s_and_b32 vcc_lo, exec_lo, s2
	s_xor_b32 s2, s2, -1
	s_cbranch_vccnz .LBB48_2
; %bb.1:
	s_load_b32 s6, s[6:7], 0x0
.LBB48_2:
	s_and_not1_b32 vcc_lo, exec_lo, s2
	s_cbranch_vccnz .LBB48_4
; %bb.3:
	s_load_b32 s24, s[24:25], 0x0
.LBB48_4:
	s_wait_kmcnt 0x0
	s_cmp_eq_f32 s6, 0
	s_mov_b32 s26, 0
	s_cselect_b32 s2, -1, 0
	s_cmp_eq_f32 s24, 1.0
	s_cselect_b32 s3, -1, 0
	s_delay_alu instid0(SALU_CYCLE_1) | instskip(NEXT) | instid1(SALU_CYCLE_1)
	s_and_b32 s2, s2, s3
	s_and_b32 vcc_lo, exec_lo, s2
	s_cbranch_vccnz .LBB48_48
; %bb.5:
	s_clause 0x1
	s_load_b128 s[8:11], s[0:1], 0x0
	s_load_b64 s[2:3], s[0:1], 0x28
	s_bfe_u32 s4, ttmp6, 0x4000c
	s_and_b32 s5, ttmp6, 15
	s_add_co_i32 s4, s4, 1
	s_delay_alu instid0(SALU_CYCLE_1)
	s_mul_i32 s7, ttmp9, s4
	s_getreg_b32 s4, hwreg(HW_REG_IB_STS2, 6, 4)
	s_add_co_i32 s5, s5, s7
	s_cmp_eq_u32 s4, 0
	s_cselect_b32 s22, ttmp9, s5
	s_wait_kmcnt 0x0
	s_cmp_lt_i32 s22, s10
	s_cselect_b32 s7, -1, 0
	s_cmp_ge_i32 s22, s10
	s_cbranch_scc1 .LBB48_7
; %bb.6:
	s_ashr_i32 s23, s22, 31
	s_delay_alu instid0(SALU_CYCLE_1) | instskip(NEXT) | instid1(SALU_CYCLE_1)
	s_lshl_b64 s[12:13], s[22:23], 2
	s_add_nc_u64 s[12:13], s[2:3], s[12:13]
	s_load_b32 s5, s[12:13], 0x0
	s_wait_kmcnt 0x0
	s_sub_co_i32 s26, s5, s21
.LBB48_7:
	s_and_not1_b32 vcc_lo, exec_lo, s7
	s_mov_b32 s23, 0
	s_cbranch_vccnz .LBB48_9
; %bb.8:
	s_ashr_i32 s23, s22, 31
	s_delay_alu instid0(SALU_CYCLE_1) | instskip(NEXT) | instid1(SALU_CYCLE_1)
	s_lshl_b64 s[12:13], s[22:23], 2
	s_add_nc_u64 s[2:3], s[2:3], s[12:13]
	s_load_b32 s2, s[2:3], 0x4
	s_wait_kmcnt 0x0
	s_sub_co_i32 s23, s2, s21
.LBB48_9:
	s_bfe_u32 s2, ttmp6, 0x40010
	s_bfe_u32 s3, ttmp6, 0x40004
	s_add_co_i32 s2, s2, 1
	s_load_b32 s10, s[0:1], 0x40
	s_mul_i32 s2, ttmp7, s2
	v_bfe_u32 v2, v0, 10, 10
	s_add_co_i32 s3, s3, s2
	s_cmp_eq_u32 s4, 0
	v_and_b32_e32 v14, 0x3ff, v0
	s_cselect_b32 s2, ttmp7, s3
	s_cmp_ge_i32 s26, s23
	v_lshl_add_u32 v4, s2, 4, v2
	s_delay_alu instid0(VALU_DEP_1) | instskip(SKIP_1) | instid1(VALU_DEP_2)
	v_add_nc_u32_e32 v0, 8, v4
	v_cmp_gt_i32_e64 s2, s11, v4
	v_cmp_gt_i32_e64 s3, s11, v0
	s_wait_kmcnt 0x0
	v_cmp_gt_i32_e32 vcc_lo, s10, v14
	s_cbranch_scc1 .LBB48_27
; %bb.10:
	s_clause 0x1
	s_load_b128 s[12:15], s[0:1], 0x48
	s_load_b128 s[16:19], s[0:1], 0x30
	v_dual_ashrrev_i32 v5, 31, v4 :: v_dual_lshlrev_b32 v15, 5, v2
	v_dual_ashrrev_i32 v1, 31, v0 :: v_dual_lshlrev_b32 v12, 5, v14
	v_cmp_gt_i32_e64 s4, s10, v2
	v_mad_u32 v3, s10, v2, v14
	v_mad_u32 v10, s10, v14, v2
	v_lshl_add_u32 v11, v2, 2, 0x200
	v_lshlrev_b32_e32 v13, 2, v14
	s_and_b32 s25, vcc_lo, s4
	s_bitcmp1_b32 s8, 0
	v_add_nc_u32_e32 v17, 0x200, v12
	s_cselect_b32 s4, -1, 0
	s_cmp_eq_u32 s9, 0
	v_add_nc_u32_e32 v20, v11, v12
	s_cselect_b32 s5, -1, 0
	v_add_nc_u32_e32 v18, 0x100, v15
	v_dual_cndmask_b32 v16, v3, v10, s5 :: v_dual_add_nc_u32 v19, v13, v15
	s_wait_kmcnt 0x0
	v_mul_u64_e32 v[6:7], s[14:15], v[4:5]
	v_mul_u64_e32 v[8:9], s[14:15], v[0:1]
	v_mov_b64_e32 v[2:3], 0
	s_mul_i32 s5, s10, s10
	s_branch .LBB48_13
.LBB48_11:                              ;   in Loop: Header=BB48_13 Depth=1
	s_or_b32 exec_lo, exec_lo, s9
.LBB48_12:                              ;   in Loop: Header=BB48_13 Depth=1
	s_delay_alu instid0(SALU_CYCLE_1) | instskip(SKIP_1) | instid1(SALU_CYCLE_1)
	s_or_b32 exec_lo, exec_lo, s8
	s_add_co_i32 s26, s26, 1
	s_cmp_ge_i32 s26, s23
	s_barrier_signal -1
	s_barrier_wait -1
	s_cbranch_scc1 .LBB48_28
.LBB48_13:                              ; =>This Loop Header: Depth=1
                                        ;     Child Loop BB48_23 Depth 2
                                        ;     Child Loop BB48_26 Depth 2
	s_and_saveexec_b32 s8, vcc_lo
	s_cbranch_execz .LBB48_18
; %bb.14:                               ;   in Loop: Header=BB48_13 Depth=1
	s_ashr_i32 s27, s26, 31
	s_delay_alu instid0(SALU_CYCLE_1) | instskip(NEXT) | instid1(SALU_CYCLE_1)
	s_lshl_b64 s[28:29], s[26:27], 2
	s_add_nc_u64 s[28:29], s[16:17], s[28:29]
	s_load_b32 s9, s[28:29], 0x0
	s_wait_kmcnt 0x0
	s_sub_co_i32 s9, s9, s21
	s_delay_alu instid0(SALU_CYCLE_1) | instskip(NEXT) | instid1(VALU_DEP_1)
	v_mad_u32 v12, s9, s10, v14
	v_ashrrev_i32_e32 v13, 31, v12
	s_delay_alu instid0(VALU_DEP_1) | instskip(SKIP_1) | instid1(VALU_DEP_2)
	v_mul_u64_e32 v[10:11], s[14:15], v[12:13]
	v_lshl_add_u64 v[12:13], v[12:13], 1, s[12:13]
	v_lshl_add_u64 v[10:11], v[10:11], 1, s[12:13]
	s_and_saveexec_b32 s9, s2
	s_cbranch_execz .LBB48_16
; %bb.15:                               ;   in Loop: Header=BB48_13 Depth=1
	s_delay_alu instid0(VALU_DEP_1) | instskip(SKIP_1) | instid1(VALU_DEP_1)
	v_lshl_add_u64 v[22:23], v[4:5], 1, v[10:11]
	v_lshl_add_u64 v[24:25], v[6:7], 1, v[12:13]
	v_dual_cndmask_b32 v23, v23, v25, s4 :: v_dual_cndmask_b32 v22, v22, v24, s4
	global_load_u16 v21, v[22:23], off
	s_wait_loadcnt 0x0
	v_cvt_f32_f16_e32 v21, v21
	ds_store_b32 v19, v21
.LBB48_16:                              ;   in Loop: Header=BB48_13 Depth=1
	s_or_b32 exec_lo, exec_lo, s9
	s_delay_alu instid0(SALU_CYCLE_1)
	s_and_b32 exec_lo, exec_lo, s3
	s_cbranch_execz .LBB48_18
; %bb.17:                               ;   in Loop: Header=BB48_13 Depth=1
	v_lshl_add_u64 v[12:13], v[8:9], 1, v[12:13]
	v_lshl_add_u64 v[10:11], v[0:1], 1, v[10:11]
	s_delay_alu instid0(VALU_DEP_1)
	v_dual_cndmask_b32 v11, v11, v13, s4 :: v_dual_cndmask_b32 v10, v10, v12, s4
	global_load_u16 v10, v[10:11], off
	s_wait_loadcnt 0x0
	v_cvt_f32_f16_e32 v10, v10
	ds_store_b32 v19, v10 offset:256
.LBB48_18:                              ;   in Loop: Header=BB48_13 Depth=1
	s_or_b32 exec_lo, exec_lo, s8
	s_and_saveexec_b32 s8, s25
	s_cbranch_execz .LBB48_20
; %bb.19:                               ;   in Loop: Header=BB48_13 Depth=1
	v_mad_u32 v10, s5, s26, v16
	global_load_u16 v10, v10, s[18:19] scale_offset
	s_wait_loadcnt 0x0
	v_cvt_f32_f16_e32 v10, v10
	ds_store_b32 v20, v10
.LBB48_20:                              ;   in Loop: Header=BB48_13 Depth=1
	s_or_b32 exec_lo, exec_lo, s8
	s_wait_dscnt 0x0
	s_barrier_signal -1
	s_barrier_wait -1
	s_and_saveexec_b32 s8, vcc_lo
	s_cbranch_execz .LBB48_12
; %bb.21:                               ;   in Loop: Header=BB48_13 Depth=1
	s_and_saveexec_b32 s9, s2
	s_cbranch_execz .LBB48_24
; %bb.22:                               ;   in Loop: Header=BB48_13 Depth=1
	v_dual_mov_b32 v10, v17 :: v_dual_mov_b32 v11, v15
	s_mov_b32 s27, s10
.LBB48_23:                              ;   Parent Loop BB48_13 Depth=1
                                        ; =>  This Inner Loop Header: Depth=2
	ds_load_b32 v12, v10
	ds_load_b32 v13, v11
	v_dual_add_nc_u32 v11, 4, v11 :: v_dual_add_nc_u32 v10, 4, v10
	s_add_co_i32 s27, s27, -1
	s_delay_alu instid0(SALU_CYCLE_1)
	s_cmp_lg_u32 s27, 0
	s_wait_dscnt 0x0
	v_fma_f32 v2, v12, v13, v2
	s_cbranch_scc1 .LBB48_23
.LBB48_24:                              ;   in Loop: Header=BB48_13 Depth=1
	s_or_b32 exec_lo, exec_lo, s9
	s_and_saveexec_b32 s9, s3
	s_cbranch_execz .LBB48_11
; %bb.25:                               ;   in Loop: Header=BB48_13 Depth=1
	v_dual_mov_b32 v10, v17 :: v_dual_mov_b32 v11, v18
	s_mov_b32 s27, s10
.LBB48_26:                              ;   Parent Loop BB48_13 Depth=1
                                        ; =>  This Inner Loop Header: Depth=2
	ds_load_b32 v12, v10
	ds_load_b32 v13, v11
	v_dual_add_nc_u32 v11, 4, v11 :: v_dual_add_nc_u32 v10, 4, v10
	s_add_co_i32 s27, s27, -1
	s_delay_alu instid0(SALU_CYCLE_1)
	s_cmp_lg_u32 s27, 0
	s_wait_dscnt 0x0
	v_fma_f32 v3, v12, v13, v3
	s_cbranch_scc1 .LBB48_26
	s_branch .LBB48_11
.LBB48_27:
	v_mov_b64_e32 v[2:3], 0
.LBB48_28:
	s_load_b64 s[4:5], s[0:1], 0x68
	s_and_b32 s2, s7, vcc_lo
	s_delay_alu instid0(SALU_CYCLE_1)
	s_and_saveexec_b32 s3, s2
	s_cbranch_execz .LBB48_48
; %bb.29:
	s_load_b64 s[2:3], s[0:1], 0x70
	v_mad_u32 v6, s10, s22, v14
	s_cmp_neq_f32 s24, 0
	s_wait_xcnt 0x0
	s_mov_b32 s0, exec_lo
	s_cselect_b32 s7, -1, 0
	s_cmp_lg_u32 s20, 1
	s_cselect_b32 s1, -1, 0
	s_delay_alu instid0(VALU_DEP_1) | instskip(SKIP_1) | instid1(VALU_DEP_1)
	v_ashrrev_i32_e32 v7, 31, v6
	s_wait_kmcnt 0x0
	v_mul_u64_e32 v[8:9], s[2:3], v[6:7]
	v_lshl_add_u64 v[6:7], v[6:7], 2, s[4:5]
	s_delay_alu instid0(VALU_DEP_2)
	v_lshl_add_u64 v[8:9], v[8:9], 2, s[4:5]
	v_cmpx_gt_i32_e64 s11, v4
	s_cbranch_execz .LBB48_41
; %bb.30:
	v_ashrrev_i32_e32 v5, 31, v4
	s_and_b32 vcc_lo, exec_lo, s7
	s_cbranch_vccz .LBB48_36
; %bb.31:
	s_and_b32 vcc_lo, exec_lo, s1
	s_mov_b32 s4, -1
	s_cbranch_vccz .LBB48_33
; %bb.32:
	v_lshl_add_u64 v[10:11], v[4:5], 2, v[8:9]
	v_mul_f32_e32 v12, s6, v2
	s_mov_b32 s4, 0
	global_load_b32 v1, v[10:11], off
	s_wait_loadcnt 0x0
	v_fmac_f32_e32 v12, s24, v1
	global_store_b32 v[10:11], v12, off
.LBB48_33:
	s_and_not1_b32 vcc_lo, exec_lo, s4
	s_cbranch_vccnz .LBB48_35
; %bb.34:
	s_wait_xcnt 0x0
	v_mul_u64_e32 v[10:11], s[2:3], v[4:5]
	v_mul_f32_e32 v12, s6, v2
	s_delay_alu instid0(VALU_DEP_2)
	v_lshl_add_u64 v[10:11], v[10:11], 2, v[6:7]
	global_load_b32 v1, v[10:11], off
	s_wait_loadcnt 0x0
	v_fmac_f32_e32 v12, s24, v1
	global_store_b32 v[10:11], v12, off
.LBB48_35:
	s_cbranch_execz .LBB48_37
	s_branch .LBB48_41
.LBB48_36:
.LBB48_37:
	v_mul_f32_e32 v1, s6, v2
	s_and_b32 vcc_lo, exec_lo, s1
	s_mov_b32 s4, -1
	s_cbranch_vccz .LBB48_39
; %bb.38:
	s_wait_xcnt 0x0
	v_lshl_add_u64 v[10:11], v[4:5], 2, v[8:9]
	s_mov_b32 s4, 0
	global_store_b32 v[10:11], v1, off
.LBB48_39:
	s_and_not1_b32 vcc_lo, exec_lo, s4
	s_cbranch_vccnz .LBB48_41
; %bb.40:
	v_mul_u64_e32 v[4:5], s[2:3], v[4:5]
	s_delay_alu instid0(VALU_DEP_1)
	v_lshl_add_u64 v[4:5], v[4:5], 2, v[6:7]
	global_store_b32 v[4:5], v1, off
.LBB48_41:
	s_wait_xcnt 0x0
	s_or_b32 exec_lo, exec_lo, s0
	v_cmp_gt_i32_e32 vcc_lo, s11, v0
	s_and_b32 exec_lo, exec_lo, vcc_lo
	s_cbranch_execz .LBB48_48
; %bb.42:
	v_cndmask_b32_e64 v2, 0, 1, s1
	v_ashrrev_i32_e32 v1, 31, v0
	s_and_not1_b32 vcc_lo, exec_lo, s7
	s_delay_alu instid0(VALU_DEP_2)
	v_cmp_ne_u32_e64 s0, 1, v2
	s_cbranch_vccnz .LBB48_49
; %bb.43:
	s_and_b32 vcc_lo, exec_lo, s0
	s_mov_b32 s0, -1
	s_cbranch_vccnz .LBB48_45
; %bb.44:
	v_lshl_add_u64 v[4:5], v[0:1], 2, v[8:9]
	v_mul_f32_e32 v10, s6, v3
	s_mov_b32 s0, 0
	global_load_b32 v2, v[4:5], off
	s_wait_loadcnt 0x0
	v_fmac_f32_e32 v10, s24, v2
	global_store_b32 v[4:5], v10, off
.LBB48_45:
	s_and_not1_b32 vcc_lo, exec_lo, s0
	s_cbranch_vccnz .LBB48_47
; %bb.46:
	s_wait_xcnt 0x0
	v_mul_u64_e32 v[4:5], s[2:3], v[0:1]
	v_mul_f32_e32 v10, s6, v3
	s_delay_alu instid0(VALU_DEP_2)
	v_lshl_add_u64 v[4:5], v[4:5], 2, v[6:7]
	global_load_b32 v2, v[4:5], off
	s_wait_loadcnt 0x0
	v_fmac_f32_e32 v10, s24, v2
	global_store_b32 v[4:5], v10, off
.LBB48_47:
	s_cbranch_execz .LBB48_50
.LBB48_48:
	s_endpgm
.LBB48_49:
.LBB48_50:
	v_mul_f32_e32 v2, s6, v3
	s_and_not1_b32 vcc_lo, exec_lo, s1
	s_mov_b32 s0, -1
	s_cbranch_vccnz .LBB48_52
; %bb.51:
	s_wait_xcnt 0x0
	v_lshl_add_u64 v[4:5], v[0:1], 2, v[8:9]
	s_mov_b32 s0, 0
	global_store_b32 v[4:5], v2, off
.LBB48_52:
	s_and_not1_b32 vcc_lo, exec_lo, s0
	s_cbranch_vccnz .LBB48_48
; %bb.53:
	v_mul_u64_e32 v[0:1], s[2:3], v[0:1]
	s_delay_alu instid0(VALU_DEP_1)
	v_lshl_add_u64 v[0:1], v[0:1], 2, v[6:7]
	global_store_b32 v[0:1], v2, off
	s_endpgm
	.section	.rodata,"a",@progbits
	.p2align	6, 0x0
	.amdhsa_kernel _ZN9rocsparseL31bsrmm_large_blockdim_kernel_extILj8ELj8ELj2EiiDF16_DF16_ffEEvb20rocsparse_direction_T3_S2_llNS_24const_host_device_scalarIT7_EEPKT2_PKS2_PKT4_S2_PKT5_llS5_PT6_ll16rocsparse_order_21rocsparse_index_base_b
		.amdhsa_group_segment_fixed_size 768
		.amdhsa_private_segment_fixed_size 0
		.amdhsa_kernarg_size 140
		.amdhsa_user_sgpr_count 2
		.amdhsa_user_sgpr_dispatch_ptr 0
		.amdhsa_user_sgpr_queue_ptr 0
		.amdhsa_user_sgpr_kernarg_segment_ptr 1
		.amdhsa_user_sgpr_dispatch_id 0
		.amdhsa_user_sgpr_kernarg_preload_length 0
		.amdhsa_user_sgpr_kernarg_preload_offset 0
		.amdhsa_user_sgpr_private_segment_size 0
		.amdhsa_wavefront_size32 1
		.amdhsa_uses_dynamic_stack 0
		.amdhsa_enable_private_segment 0
		.amdhsa_system_sgpr_workgroup_id_x 1
		.amdhsa_system_sgpr_workgroup_id_y 1
		.amdhsa_system_sgpr_workgroup_id_z 0
		.amdhsa_system_sgpr_workgroup_info 0
		.amdhsa_system_vgpr_workitem_id 1
		.amdhsa_next_free_vgpr 26
		.amdhsa_next_free_sgpr 30
		.amdhsa_named_barrier_count 0
		.amdhsa_reserve_vcc 1
		.amdhsa_float_round_mode_32 0
		.amdhsa_float_round_mode_16_64 0
		.amdhsa_float_denorm_mode_32 3
		.amdhsa_float_denorm_mode_16_64 3
		.amdhsa_fp16_overflow 0
		.amdhsa_memory_ordered 1
		.amdhsa_forward_progress 1
		.amdhsa_inst_pref_size 13
		.amdhsa_round_robin_scheduling 0
		.amdhsa_exception_fp_ieee_invalid_op 0
		.amdhsa_exception_fp_denorm_src 0
		.amdhsa_exception_fp_ieee_div_zero 0
		.amdhsa_exception_fp_ieee_overflow 0
		.amdhsa_exception_fp_ieee_underflow 0
		.amdhsa_exception_fp_ieee_inexact 0
		.amdhsa_exception_int_div_zero 0
	.end_amdhsa_kernel
	.section	.text._ZN9rocsparseL31bsrmm_large_blockdim_kernel_extILj8ELj8ELj2EiiDF16_DF16_ffEEvb20rocsparse_direction_T3_S2_llNS_24const_host_device_scalarIT7_EEPKT2_PKS2_PKT4_S2_PKT5_llS5_PT6_ll16rocsparse_order_21rocsparse_index_base_b,"axG",@progbits,_ZN9rocsparseL31bsrmm_large_blockdim_kernel_extILj8ELj8ELj2EiiDF16_DF16_ffEEvb20rocsparse_direction_T3_S2_llNS_24const_host_device_scalarIT7_EEPKT2_PKS2_PKT4_S2_PKT5_llS5_PT6_ll16rocsparse_order_21rocsparse_index_base_b,comdat
.Lfunc_end48:
	.size	_ZN9rocsparseL31bsrmm_large_blockdim_kernel_extILj8ELj8ELj2EiiDF16_DF16_ffEEvb20rocsparse_direction_T3_S2_llNS_24const_host_device_scalarIT7_EEPKT2_PKS2_PKT4_S2_PKT5_llS5_PT6_ll16rocsparse_order_21rocsparse_index_base_b, .Lfunc_end48-_ZN9rocsparseL31bsrmm_large_blockdim_kernel_extILj8ELj8ELj2EiiDF16_DF16_ffEEvb20rocsparse_direction_T3_S2_llNS_24const_host_device_scalarIT7_EEPKT2_PKS2_PKT4_S2_PKT5_llS5_PT6_ll16rocsparse_order_21rocsparse_index_base_b
                                        ; -- End function
	.set _ZN9rocsparseL31bsrmm_large_blockdim_kernel_extILj8ELj8ELj2EiiDF16_DF16_ffEEvb20rocsparse_direction_T3_S2_llNS_24const_host_device_scalarIT7_EEPKT2_PKS2_PKT4_S2_PKT5_llS5_PT6_ll16rocsparse_order_21rocsparse_index_base_b.num_vgpr, 26
	.set _ZN9rocsparseL31bsrmm_large_blockdim_kernel_extILj8ELj8ELj2EiiDF16_DF16_ffEEvb20rocsparse_direction_T3_S2_llNS_24const_host_device_scalarIT7_EEPKT2_PKS2_PKT4_S2_PKT5_llS5_PT6_ll16rocsparse_order_21rocsparse_index_base_b.num_agpr, 0
	.set _ZN9rocsparseL31bsrmm_large_blockdim_kernel_extILj8ELj8ELj2EiiDF16_DF16_ffEEvb20rocsparse_direction_T3_S2_llNS_24const_host_device_scalarIT7_EEPKT2_PKS2_PKT4_S2_PKT5_llS5_PT6_ll16rocsparse_order_21rocsparse_index_base_b.numbered_sgpr, 30
	.set _ZN9rocsparseL31bsrmm_large_blockdim_kernel_extILj8ELj8ELj2EiiDF16_DF16_ffEEvb20rocsparse_direction_T3_S2_llNS_24const_host_device_scalarIT7_EEPKT2_PKS2_PKT4_S2_PKT5_llS5_PT6_ll16rocsparse_order_21rocsparse_index_base_b.num_named_barrier, 0
	.set _ZN9rocsparseL31bsrmm_large_blockdim_kernel_extILj8ELj8ELj2EiiDF16_DF16_ffEEvb20rocsparse_direction_T3_S2_llNS_24const_host_device_scalarIT7_EEPKT2_PKS2_PKT4_S2_PKT5_llS5_PT6_ll16rocsparse_order_21rocsparse_index_base_b.private_seg_size, 0
	.set _ZN9rocsparseL31bsrmm_large_blockdim_kernel_extILj8ELj8ELj2EiiDF16_DF16_ffEEvb20rocsparse_direction_T3_S2_llNS_24const_host_device_scalarIT7_EEPKT2_PKS2_PKT4_S2_PKT5_llS5_PT6_ll16rocsparse_order_21rocsparse_index_base_b.uses_vcc, 1
	.set _ZN9rocsparseL31bsrmm_large_blockdim_kernel_extILj8ELj8ELj2EiiDF16_DF16_ffEEvb20rocsparse_direction_T3_S2_llNS_24const_host_device_scalarIT7_EEPKT2_PKS2_PKT4_S2_PKT5_llS5_PT6_ll16rocsparse_order_21rocsparse_index_base_b.uses_flat_scratch, 0
	.set _ZN9rocsparseL31bsrmm_large_blockdim_kernel_extILj8ELj8ELj2EiiDF16_DF16_ffEEvb20rocsparse_direction_T3_S2_llNS_24const_host_device_scalarIT7_EEPKT2_PKS2_PKT4_S2_PKT5_llS5_PT6_ll16rocsparse_order_21rocsparse_index_base_b.has_dyn_sized_stack, 0
	.set _ZN9rocsparseL31bsrmm_large_blockdim_kernel_extILj8ELj8ELj2EiiDF16_DF16_ffEEvb20rocsparse_direction_T3_S2_llNS_24const_host_device_scalarIT7_EEPKT2_PKS2_PKT4_S2_PKT5_llS5_PT6_ll16rocsparse_order_21rocsparse_index_base_b.has_recursion, 0
	.set _ZN9rocsparseL31bsrmm_large_blockdim_kernel_extILj8ELj8ELj2EiiDF16_DF16_ffEEvb20rocsparse_direction_T3_S2_llNS_24const_host_device_scalarIT7_EEPKT2_PKS2_PKT4_S2_PKT5_llS5_PT6_ll16rocsparse_order_21rocsparse_index_base_b.has_indirect_call, 0
	.section	.AMDGPU.csdata,"",@progbits
; Kernel info:
; codeLenInByte = 1640
; TotalNumSgprs: 32
; NumVgprs: 26
; ScratchSize: 0
; MemoryBound: 0
; FloatMode: 240
; IeeeMode: 1
; LDSByteSize: 768 bytes/workgroup (compile time only)
; SGPRBlocks: 0
; VGPRBlocks: 1
; NumSGPRsForWavesPerEU: 32
; NumVGPRsForWavesPerEU: 26
; NamedBarCnt: 0
; Occupancy: 16
; WaveLimiterHint : 1
; COMPUTE_PGM_RSRC2:SCRATCH_EN: 0
; COMPUTE_PGM_RSRC2:USER_SGPR: 2
; COMPUTE_PGM_RSRC2:TRAP_HANDLER: 0
; COMPUTE_PGM_RSRC2:TGID_X_EN: 1
; COMPUTE_PGM_RSRC2:TGID_Y_EN: 1
; COMPUTE_PGM_RSRC2:TGID_Z_EN: 0
; COMPUTE_PGM_RSRC2:TIDIG_COMP_CNT: 1
	.section	.text._ZN9rocsparseL31bsrmm_large_blockdim_kernel_extILj4ELj16ELj2EiiDF16_DF16_ffEEvb20rocsparse_direction_T3_S2_llNS_24const_host_device_scalarIT7_EEPKT2_PKS2_PKT4_S2_PKT5_llS5_PT6_ll16rocsparse_order_21rocsparse_index_base_b,"axG",@progbits,_ZN9rocsparseL31bsrmm_large_blockdim_kernel_extILj4ELj16ELj2EiiDF16_DF16_ffEEvb20rocsparse_direction_T3_S2_llNS_24const_host_device_scalarIT7_EEPKT2_PKS2_PKT4_S2_PKT5_llS5_PT6_ll16rocsparse_order_21rocsparse_index_base_b,comdat
	.globl	_ZN9rocsparseL31bsrmm_large_blockdim_kernel_extILj4ELj16ELj2EiiDF16_DF16_ffEEvb20rocsparse_direction_T3_S2_llNS_24const_host_device_scalarIT7_EEPKT2_PKS2_PKT4_S2_PKT5_llS5_PT6_ll16rocsparse_order_21rocsparse_index_base_b ; -- Begin function _ZN9rocsparseL31bsrmm_large_blockdim_kernel_extILj4ELj16ELj2EiiDF16_DF16_ffEEvb20rocsparse_direction_T3_S2_llNS_24const_host_device_scalarIT7_EEPKT2_PKS2_PKT4_S2_PKT5_llS5_PT6_ll16rocsparse_order_21rocsparse_index_base_b
	.p2align	8
	.type	_ZN9rocsparseL31bsrmm_large_blockdim_kernel_extILj4ELj16ELj2EiiDF16_DF16_ffEEvb20rocsparse_direction_T3_S2_llNS_24const_host_device_scalarIT7_EEPKT2_PKS2_PKT4_S2_PKT5_llS5_PT6_ll16rocsparse_order_21rocsparse_index_base_b,@function
_ZN9rocsparseL31bsrmm_large_blockdim_kernel_extILj4ELj16ELj2EiiDF16_DF16_ffEEvb20rocsparse_direction_T3_S2_llNS_24const_host_device_scalarIT7_EEPKT2_PKS2_PKT4_S2_PKT5_llS5_PT6_ll16rocsparse_order_21rocsparse_index_base_b: ; @_ZN9rocsparseL31bsrmm_large_blockdim_kernel_extILj4ELj16ELj2EiiDF16_DF16_ffEEvb20rocsparse_direction_T3_S2_llNS_24const_host_device_scalarIT7_EEPKT2_PKS2_PKT4_S2_PKT5_llS5_PT6_ll16rocsparse_order_21rocsparse_index_base_b
; %bb.0:
	s_clause 0x2
	s_load_b96 s[20:22], s[0:1], 0x80
	s_load_b64 s[6:7], s[0:1], 0x20
	s_load_b64 s[24:25], s[0:1], 0x60
	s_wait_kmcnt 0x0
	s_bitcmp1_b32 s22, 0
	s_cselect_b32 s2, -1, 0
	s_delay_alu instid0(SALU_CYCLE_1)
	s_and_b32 vcc_lo, exec_lo, s2
	s_xor_b32 s2, s2, -1
	s_cbranch_vccnz .LBB49_2
; %bb.1:
	s_load_b32 s6, s[6:7], 0x0
.LBB49_2:
	s_and_not1_b32 vcc_lo, exec_lo, s2
	s_cbranch_vccnz .LBB49_4
; %bb.3:
	s_load_b32 s24, s[24:25], 0x0
.LBB49_4:
	s_wait_kmcnt 0x0
	s_cmp_eq_f32 s6, 0
	s_mov_b32 s26, 0
	s_cselect_b32 s2, -1, 0
	s_cmp_eq_f32 s24, 1.0
	s_cselect_b32 s3, -1, 0
	s_delay_alu instid0(SALU_CYCLE_1) | instskip(NEXT) | instid1(SALU_CYCLE_1)
	s_and_b32 s2, s2, s3
	s_and_b32 vcc_lo, exec_lo, s2
	s_cbranch_vccnz .LBB49_48
; %bb.5:
	s_clause 0x1
	s_load_b128 s[8:11], s[0:1], 0x0
	s_load_b64 s[2:3], s[0:1], 0x28
	s_bfe_u32 s4, ttmp6, 0x4000c
	s_and_b32 s5, ttmp6, 15
	s_add_co_i32 s4, s4, 1
	s_delay_alu instid0(SALU_CYCLE_1)
	s_mul_i32 s7, ttmp9, s4
	s_getreg_b32 s4, hwreg(HW_REG_IB_STS2, 6, 4)
	s_add_co_i32 s5, s5, s7
	s_cmp_eq_u32 s4, 0
	s_cselect_b32 s22, ttmp9, s5
	s_wait_kmcnt 0x0
	s_cmp_lt_i32 s22, s10
	s_cselect_b32 s7, -1, 0
	s_cmp_ge_i32 s22, s10
	s_cbranch_scc1 .LBB49_7
; %bb.6:
	s_ashr_i32 s23, s22, 31
	s_delay_alu instid0(SALU_CYCLE_1) | instskip(NEXT) | instid1(SALU_CYCLE_1)
	s_lshl_b64 s[12:13], s[22:23], 2
	s_add_nc_u64 s[12:13], s[2:3], s[12:13]
	s_load_b32 s5, s[12:13], 0x0
	s_wait_kmcnt 0x0
	s_sub_co_i32 s26, s5, s21
.LBB49_7:
	s_and_not1_b32 vcc_lo, exec_lo, s7
	s_mov_b32 s23, 0
	s_cbranch_vccnz .LBB49_9
; %bb.8:
	s_ashr_i32 s23, s22, 31
	s_delay_alu instid0(SALU_CYCLE_1) | instskip(NEXT) | instid1(SALU_CYCLE_1)
	s_lshl_b64 s[12:13], s[22:23], 2
	s_add_nc_u64 s[2:3], s[2:3], s[12:13]
	s_load_b32 s2, s[2:3], 0x4
	s_wait_kmcnt 0x0
	s_sub_co_i32 s23, s2, s21
.LBB49_9:
	s_bfe_u32 s2, ttmp6, 0x40010
	s_bfe_u32 s3, ttmp6, 0x40004
	s_add_co_i32 s2, s2, 1
	s_load_b32 s10, s[0:1], 0x40
	s_mul_i32 s2, ttmp7, s2
	v_bfe_u32 v2, v0, 10, 10
	s_add_co_i32 s3, s3, s2
	s_cmp_eq_u32 s4, 0
	v_and_b32_e32 v14, 0x3ff, v0
	s_cselect_b32 s2, ttmp7, s3
	s_cmp_ge_i32 s26, s23
	v_lshl_add_u32 v4, s2, 5, v2
	s_delay_alu instid0(VALU_DEP_1) | instskip(SKIP_1) | instid1(VALU_DEP_2)
	v_add_nc_u32_e32 v0, 16, v4
	v_cmp_gt_i32_e64 s2, s11, v4
	v_cmp_gt_i32_e64 s3, s11, v0
	s_wait_kmcnt 0x0
	v_cmp_gt_i32_e32 vcc_lo, s10, v14
	s_cbranch_scc1 .LBB49_27
; %bb.10:
	s_clause 0x1
	s_load_b128 s[12:15], s[0:1], 0x48
	s_load_b128 s[16:19], s[0:1], 0x30
	v_dual_ashrrev_i32 v5, 31, v4 :: v_dual_lshlrev_b32 v15, 4, v2
	v_dual_ashrrev_i32 v1, 31, v0 :: v_dual_lshlrev_b32 v12, 4, v14
	v_cmp_gt_i32_e64 s4, s10, v2
	v_mad_u32 v3, s10, v2, v14
	v_mad_u32 v10, s10, v14, v2
	v_lshl_add_u32 v11, v2, 2, 0x200
	v_lshlrev_b32_e32 v13, 2, v14
	s_and_b32 s25, vcc_lo, s4
	s_bitcmp1_b32 s8, 0
	v_add_nc_u32_e32 v17, 0x200, v12
	s_cselect_b32 s4, -1, 0
	s_cmp_eq_u32 s9, 0
	v_add_nc_u32_e32 v20, v11, v12
	s_cselect_b32 s5, -1, 0
	v_add_nc_u32_e32 v18, 0x100, v15
	v_dual_cndmask_b32 v16, v3, v10, s5 :: v_dual_add_nc_u32 v19, v13, v15
	s_wait_kmcnt 0x0
	v_mul_u64_e32 v[6:7], s[14:15], v[4:5]
	v_mul_u64_e32 v[8:9], s[14:15], v[0:1]
	v_mov_b64_e32 v[2:3], 0
	s_mul_i32 s5, s10, s10
	s_branch .LBB49_13
.LBB49_11:                              ;   in Loop: Header=BB49_13 Depth=1
	s_or_b32 exec_lo, exec_lo, s9
.LBB49_12:                              ;   in Loop: Header=BB49_13 Depth=1
	s_delay_alu instid0(SALU_CYCLE_1) | instskip(SKIP_1) | instid1(SALU_CYCLE_1)
	s_or_b32 exec_lo, exec_lo, s8
	s_add_co_i32 s26, s26, 1
	s_cmp_ge_i32 s26, s23
	s_barrier_signal -1
	s_barrier_wait -1
	s_cbranch_scc1 .LBB49_28
.LBB49_13:                              ; =>This Loop Header: Depth=1
                                        ;     Child Loop BB49_23 Depth 2
                                        ;     Child Loop BB49_26 Depth 2
	s_and_saveexec_b32 s8, vcc_lo
	s_cbranch_execz .LBB49_18
; %bb.14:                               ;   in Loop: Header=BB49_13 Depth=1
	s_ashr_i32 s27, s26, 31
	s_delay_alu instid0(SALU_CYCLE_1) | instskip(NEXT) | instid1(SALU_CYCLE_1)
	s_lshl_b64 s[28:29], s[26:27], 2
	s_add_nc_u64 s[28:29], s[16:17], s[28:29]
	s_load_b32 s9, s[28:29], 0x0
	s_wait_kmcnt 0x0
	s_sub_co_i32 s9, s9, s21
	s_delay_alu instid0(SALU_CYCLE_1) | instskip(NEXT) | instid1(VALU_DEP_1)
	v_mad_u32 v12, s9, s10, v14
	v_ashrrev_i32_e32 v13, 31, v12
	s_delay_alu instid0(VALU_DEP_1) | instskip(SKIP_1) | instid1(VALU_DEP_2)
	v_mul_u64_e32 v[10:11], s[14:15], v[12:13]
	v_lshl_add_u64 v[12:13], v[12:13], 1, s[12:13]
	v_lshl_add_u64 v[10:11], v[10:11], 1, s[12:13]
	s_and_saveexec_b32 s9, s2
	s_cbranch_execz .LBB49_16
; %bb.15:                               ;   in Loop: Header=BB49_13 Depth=1
	s_delay_alu instid0(VALU_DEP_1) | instskip(SKIP_1) | instid1(VALU_DEP_1)
	v_lshl_add_u64 v[22:23], v[4:5], 1, v[10:11]
	v_lshl_add_u64 v[24:25], v[6:7], 1, v[12:13]
	v_dual_cndmask_b32 v23, v23, v25, s4 :: v_dual_cndmask_b32 v22, v22, v24, s4
	global_load_u16 v21, v[22:23], off
	s_wait_loadcnt 0x0
	v_cvt_f32_f16_e32 v21, v21
	ds_store_b32 v19, v21
.LBB49_16:                              ;   in Loop: Header=BB49_13 Depth=1
	s_or_b32 exec_lo, exec_lo, s9
	s_delay_alu instid0(SALU_CYCLE_1)
	s_and_b32 exec_lo, exec_lo, s3
	s_cbranch_execz .LBB49_18
; %bb.17:                               ;   in Loop: Header=BB49_13 Depth=1
	v_lshl_add_u64 v[12:13], v[8:9], 1, v[12:13]
	v_lshl_add_u64 v[10:11], v[0:1], 1, v[10:11]
	s_delay_alu instid0(VALU_DEP_1)
	v_dual_cndmask_b32 v11, v11, v13, s4 :: v_dual_cndmask_b32 v10, v10, v12, s4
	global_load_u16 v10, v[10:11], off
	s_wait_loadcnt 0x0
	v_cvt_f32_f16_e32 v10, v10
	ds_store_b32 v19, v10 offset:256
.LBB49_18:                              ;   in Loop: Header=BB49_13 Depth=1
	s_or_b32 exec_lo, exec_lo, s8
	s_and_saveexec_b32 s8, s25
	s_cbranch_execz .LBB49_20
; %bb.19:                               ;   in Loop: Header=BB49_13 Depth=1
	v_mad_u32 v10, s5, s26, v16
	global_load_u16 v10, v10, s[18:19] scale_offset
	s_wait_loadcnt 0x0
	v_cvt_f32_f16_e32 v10, v10
	ds_store_b32 v20, v10
.LBB49_20:                              ;   in Loop: Header=BB49_13 Depth=1
	s_or_b32 exec_lo, exec_lo, s8
	s_wait_dscnt 0x0
	s_barrier_signal -1
	s_barrier_wait -1
	s_and_saveexec_b32 s8, vcc_lo
	s_cbranch_execz .LBB49_12
; %bb.21:                               ;   in Loop: Header=BB49_13 Depth=1
	s_and_saveexec_b32 s9, s2
	s_cbranch_execz .LBB49_24
; %bb.22:                               ;   in Loop: Header=BB49_13 Depth=1
	v_dual_mov_b32 v10, v17 :: v_dual_mov_b32 v11, v15
	s_mov_b32 s27, s10
.LBB49_23:                              ;   Parent Loop BB49_13 Depth=1
                                        ; =>  This Inner Loop Header: Depth=2
	ds_load_b32 v12, v10
	ds_load_b32 v13, v11
	v_dual_add_nc_u32 v11, 4, v11 :: v_dual_add_nc_u32 v10, 4, v10
	s_add_co_i32 s27, s27, -1
	s_delay_alu instid0(SALU_CYCLE_1)
	s_cmp_lg_u32 s27, 0
	s_wait_dscnt 0x0
	v_fma_f32 v2, v12, v13, v2
	s_cbranch_scc1 .LBB49_23
.LBB49_24:                              ;   in Loop: Header=BB49_13 Depth=1
	s_or_b32 exec_lo, exec_lo, s9
	s_and_saveexec_b32 s9, s3
	s_cbranch_execz .LBB49_11
; %bb.25:                               ;   in Loop: Header=BB49_13 Depth=1
	v_dual_mov_b32 v10, v17 :: v_dual_mov_b32 v11, v18
	s_mov_b32 s27, s10
.LBB49_26:                              ;   Parent Loop BB49_13 Depth=1
                                        ; =>  This Inner Loop Header: Depth=2
	ds_load_b32 v12, v10
	ds_load_b32 v13, v11
	v_dual_add_nc_u32 v11, 4, v11 :: v_dual_add_nc_u32 v10, 4, v10
	s_add_co_i32 s27, s27, -1
	s_delay_alu instid0(SALU_CYCLE_1)
	s_cmp_lg_u32 s27, 0
	s_wait_dscnt 0x0
	v_fma_f32 v3, v12, v13, v3
	s_cbranch_scc1 .LBB49_26
	s_branch .LBB49_11
.LBB49_27:
	v_mov_b64_e32 v[2:3], 0
.LBB49_28:
	s_load_b64 s[4:5], s[0:1], 0x68
	s_and_b32 s2, s7, vcc_lo
	s_delay_alu instid0(SALU_CYCLE_1)
	s_and_saveexec_b32 s3, s2
	s_cbranch_execz .LBB49_48
; %bb.29:
	s_load_b64 s[2:3], s[0:1], 0x70
	v_mad_u32 v6, s10, s22, v14
	s_cmp_neq_f32 s24, 0
	s_wait_xcnt 0x0
	s_mov_b32 s0, exec_lo
	s_cselect_b32 s7, -1, 0
	s_cmp_lg_u32 s20, 1
	s_cselect_b32 s1, -1, 0
	s_delay_alu instid0(VALU_DEP_1) | instskip(SKIP_1) | instid1(VALU_DEP_1)
	v_ashrrev_i32_e32 v7, 31, v6
	s_wait_kmcnt 0x0
	v_mul_u64_e32 v[8:9], s[2:3], v[6:7]
	v_lshl_add_u64 v[6:7], v[6:7], 2, s[4:5]
	s_delay_alu instid0(VALU_DEP_2)
	v_lshl_add_u64 v[8:9], v[8:9], 2, s[4:5]
	v_cmpx_gt_i32_e64 s11, v4
	s_cbranch_execz .LBB49_41
; %bb.30:
	v_ashrrev_i32_e32 v5, 31, v4
	s_and_b32 vcc_lo, exec_lo, s7
	s_cbranch_vccz .LBB49_36
; %bb.31:
	s_and_b32 vcc_lo, exec_lo, s1
	s_mov_b32 s4, -1
	s_cbranch_vccz .LBB49_33
; %bb.32:
	v_lshl_add_u64 v[10:11], v[4:5], 2, v[8:9]
	v_mul_f32_e32 v12, s6, v2
	s_mov_b32 s4, 0
	global_load_b32 v1, v[10:11], off
	s_wait_loadcnt 0x0
	v_fmac_f32_e32 v12, s24, v1
	global_store_b32 v[10:11], v12, off
.LBB49_33:
	s_and_not1_b32 vcc_lo, exec_lo, s4
	s_cbranch_vccnz .LBB49_35
; %bb.34:
	s_wait_xcnt 0x0
	v_mul_u64_e32 v[10:11], s[2:3], v[4:5]
	v_mul_f32_e32 v12, s6, v2
	s_delay_alu instid0(VALU_DEP_2)
	v_lshl_add_u64 v[10:11], v[10:11], 2, v[6:7]
	global_load_b32 v1, v[10:11], off
	s_wait_loadcnt 0x0
	v_fmac_f32_e32 v12, s24, v1
	global_store_b32 v[10:11], v12, off
.LBB49_35:
	s_cbranch_execz .LBB49_37
	s_branch .LBB49_41
.LBB49_36:
.LBB49_37:
	v_mul_f32_e32 v1, s6, v2
	s_and_b32 vcc_lo, exec_lo, s1
	s_mov_b32 s4, -1
	s_cbranch_vccz .LBB49_39
; %bb.38:
	s_wait_xcnt 0x0
	v_lshl_add_u64 v[10:11], v[4:5], 2, v[8:9]
	s_mov_b32 s4, 0
	global_store_b32 v[10:11], v1, off
.LBB49_39:
	s_and_not1_b32 vcc_lo, exec_lo, s4
	s_cbranch_vccnz .LBB49_41
; %bb.40:
	v_mul_u64_e32 v[4:5], s[2:3], v[4:5]
	s_delay_alu instid0(VALU_DEP_1)
	v_lshl_add_u64 v[4:5], v[4:5], 2, v[6:7]
	global_store_b32 v[4:5], v1, off
.LBB49_41:
	s_wait_xcnt 0x0
	s_or_b32 exec_lo, exec_lo, s0
	v_cmp_gt_i32_e32 vcc_lo, s11, v0
	s_and_b32 exec_lo, exec_lo, vcc_lo
	s_cbranch_execz .LBB49_48
; %bb.42:
	v_cndmask_b32_e64 v2, 0, 1, s1
	v_ashrrev_i32_e32 v1, 31, v0
	s_and_not1_b32 vcc_lo, exec_lo, s7
	s_delay_alu instid0(VALU_DEP_2)
	v_cmp_ne_u32_e64 s0, 1, v2
	s_cbranch_vccnz .LBB49_49
; %bb.43:
	s_and_b32 vcc_lo, exec_lo, s0
	s_mov_b32 s0, -1
	s_cbranch_vccnz .LBB49_45
; %bb.44:
	v_lshl_add_u64 v[4:5], v[0:1], 2, v[8:9]
	v_mul_f32_e32 v10, s6, v3
	s_mov_b32 s0, 0
	global_load_b32 v2, v[4:5], off
	s_wait_loadcnt 0x0
	v_fmac_f32_e32 v10, s24, v2
	global_store_b32 v[4:5], v10, off
.LBB49_45:
	s_and_not1_b32 vcc_lo, exec_lo, s0
	s_cbranch_vccnz .LBB49_47
; %bb.46:
	s_wait_xcnt 0x0
	v_mul_u64_e32 v[4:5], s[2:3], v[0:1]
	v_mul_f32_e32 v10, s6, v3
	s_delay_alu instid0(VALU_DEP_2)
	v_lshl_add_u64 v[4:5], v[4:5], 2, v[6:7]
	global_load_b32 v2, v[4:5], off
	s_wait_loadcnt 0x0
	v_fmac_f32_e32 v10, s24, v2
	global_store_b32 v[4:5], v10, off
.LBB49_47:
	s_cbranch_execz .LBB49_50
.LBB49_48:
	s_endpgm
.LBB49_49:
.LBB49_50:
	v_mul_f32_e32 v2, s6, v3
	s_and_not1_b32 vcc_lo, exec_lo, s1
	s_mov_b32 s0, -1
	s_cbranch_vccnz .LBB49_52
; %bb.51:
	s_wait_xcnt 0x0
	v_lshl_add_u64 v[4:5], v[0:1], 2, v[8:9]
	s_mov_b32 s0, 0
	global_store_b32 v[4:5], v2, off
.LBB49_52:
	s_and_not1_b32 vcc_lo, exec_lo, s0
	s_cbranch_vccnz .LBB49_48
; %bb.53:
	v_mul_u64_e32 v[0:1], s[2:3], v[0:1]
	s_delay_alu instid0(VALU_DEP_1)
	v_lshl_add_u64 v[0:1], v[0:1], 2, v[6:7]
	global_store_b32 v[0:1], v2, off
	s_endpgm
	.section	.rodata,"a",@progbits
	.p2align	6, 0x0
	.amdhsa_kernel _ZN9rocsparseL31bsrmm_large_blockdim_kernel_extILj4ELj16ELj2EiiDF16_DF16_ffEEvb20rocsparse_direction_T3_S2_llNS_24const_host_device_scalarIT7_EEPKT2_PKS2_PKT4_S2_PKT5_llS5_PT6_ll16rocsparse_order_21rocsparse_index_base_b
		.amdhsa_group_segment_fixed_size 576
		.amdhsa_private_segment_fixed_size 0
		.amdhsa_kernarg_size 140
		.amdhsa_user_sgpr_count 2
		.amdhsa_user_sgpr_dispatch_ptr 0
		.amdhsa_user_sgpr_queue_ptr 0
		.amdhsa_user_sgpr_kernarg_segment_ptr 1
		.amdhsa_user_sgpr_dispatch_id 0
		.amdhsa_user_sgpr_kernarg_preload_length 0
		.amdhsa_user_sgpr_kernarg_preload_offset 0
		.amdhsa_user_sgpr_private_segment_size 0
		.amdhsa_wavefront_size32 1
		.amdhsa_uses_dynamic_stack 0
		.amdhsa_enable_private_segment 0
		.amdhsa_system_sgpr_workgroup_id_x 1
		.amdhsa_system_sgpr_workgroup_id_y 1
		.amdhsa_system_sgpr_workgroup_id_z 0
		.amdhsa_system_sgpr_workgroup_info 0
		.amdhsa_system_vgpr_workitem_id 1
		.amdhsa_next_free_vgpr 26
		.amdhsa_next_free_sgpr 30
		.amdhsa_named_barrier_count 0
		.amdhsa_reserve_vcc 1
		.amdhsa_float_round_mode_32 0
		.amdhsa_float_round_mode_16_64 0
		.amdhsa_float_denorm_mode_32 3
		.amdhsa_float_denorm_mode_16_64 3
		.amdhsa_fp16_overflow 0
		.amdhsa_memory_ordered 1
		.amdhsa_forward_progress 1
		.amdhsa_inst_pref_size 13
		.amdhsa_round_robin_scheduling 0
		.amdhsa_exception_fp_ieee_invalid_op 0
		.amdhsa_exception_fp_denorm_src 0
		.amdhsa_exception_fp_ieee_div_zero 0
		.amdhsa_exception_fp_ieee_overflow 0
		.amdhsa_exception_fp_ieee_underflow 0
		.amdhsa_exception_fp_ieee_inexact 0
		.amdhsa_exception_int_div_zero 0
	.end_amdhsa_kernel
	.section	.text._ZN9rocsparseL31bsrmm_large_blockdim_kernel_extILj4ELj16ELj2EiiDF16_DF16_ffEEvb20rocsparse_direction_T3_S2_llNS_24const_host_device_scalarIT7_EEPKT2_PKS2_PKT4_S2_PKT5_llS5_PT6_ll16rocsparse_order_21rocsparse_index_base_b,"axG",@progbits,_ZN9rocsparseL31bsrmm_large_blockdim_kernel_extILj4ELj16ELj2EiiDF16_DF16_ffEEvb20rocsparse_direction_T3_S2_llNS_24const_host_device_scalarIT7_EEPKT2_PKS2_PKT4_S2_PKT5_llS5_PT6_ll16rocsparse_order_21rocsparse_index_base_b,comdat
.Lfunc_end49:
	.size	_ZN9rocsparseL31bsrmm_large_blockdim_kernel_extILj4ELj16ELj2EiiDF16_DF16_ffEEvb20rocsparse_direction_T3_S2_llNS_24const_host_device_scalarIT7_EEPKT2_PKS2_PKT4_S2_PKT5_llS5_PT6_ll16rocsparse_order_21rocsparse_index_base_b, .Lfunc_end49-_ZN9rocsparseL31bsrmm_large_blockdim_kernel_extILj4ELj16ELj2EiiDF16_DF16_ffEEvb20rocsparse_direction_T3_S2_llNS_24const_host_device_scalarIT7_EEPKT2_PKS2_PKT4_S2_PKT5_llS5_PT6_ll16rocsparse_order_21rocsparse_index_base_b
                                        ; -- End function
	.set _ZN9rocsparseL31bsrmm_large_blockdim_kernel_extILj4ELj16ELj2EiiDF16_DF16_ffEEvb20rocsparse_direction_T3_S2_llNS_24const_host_device_scalarIT7_EEPKT2_PKS2_PKT4_S2_PKT5_llS5_PT6_ll16rocsparse_order_21rocsparse_index_base_b.num_vgpr, 26
	.set _ZN9rocsparseL31bsrmm_large_blockdim_kernel_extILj4ELj16ELj2EiiDF16_DF16_ffEEvb20rocsparse_direction_T3_S2_llNS_24const_host_device_scalarIT7_EEPKT2_PKS2_PKT4_S2_PKT5_llS5_PT6_ll16rocsparse_order_21rocsparse_index_base_b.num_agpr, 0
	.set _ZN9rocsparseL31bsrmm_large_blockdim_kernel_extILj4ELj16ELj2EiiDF16_DF16_ffEEvb20rocsparse_direction_T3_S2_llNS_24const_host_device_scalarIT7_EEPKT2_PKS2_PKT4_S2_PKT5_llS5_PT6_ll16rocsparse_order_21rocsparse_index_base_b.numbered_sgpr, 30
	.set _ZN9rocsparseL31bsrmm_large_blockdim_kernel_extILj4ELj16ELj2EiiDF16_DF16_ffEEvb20rocsparse_direction_T3_S2_llNS_24const_host_device_scalarIT7_EEPKT2_PKS2_PKT4_S2_PKT5_llS5_PT6_ll16rocsparse_order_21rocsparse_index_base_b.num_named_barrier, 0
	.set _ZN9rocsparseL31bsrmm_large_blockdim_kernel_extILj4ELj16ELj2EiiDF16_DF16_ffEEvb20rocsparse_direction_T3_S2_llNS_24const_host_device_scalarIT7_EEPKT2_PKS2_PKT4_S2_PKT5_llS5_PT6_ll16rocsparse_order_21rocsparse_index_base_b.private_seg_size, 0
	.set _ZN9rocsparseL31bsrmm_large_blockdim_kernel_extILj4ELj16ELj2EiiDF16_DF16_ffEEvb20rocsparse_direction_T3_S2_llNS_24const_host_device_scalarIT7_EEPKT2_PKS2_PKT4_S2_PKT5_llS5_PT6_ll16rocsparse_order_21rocsparse_index_base_b.uses_vcc, 1
	.set _ZN9rocsparseL31bsrmm_large_blockdim_kernel_extILj4ELj16ELj2EiiDF16_DF16_ffEEvb20rocsparse_direction_T3_S2_llNS_24const_host_device_scalarIT7_EEPKT2_PKS2_PKT4_S2_PKT5_llS5_PT6_ll16rocsparse_order_21rocsparse_index_base_b.uses_flat_scratch, 0
	.set _ZN9rocsparseL31bsrmm_large_blockdim_kernel_extILj4ELj16ELj2EiiDF16_DF16_ffEEvb20rocsparse_direction_T3_S2_llNS_24const_host_device_scalarIT7_EEPKT2_PKS2_PKT4_S2_PKT5_llS5_PT6_ll16rocsparse_order_21rocsparse_index_base_b.has_dyn_sized_stack, 0
	.set _ZN9rocsparseL31bsrmm_large_blockdim_kernel_extILj4ELj16ELj2EiiDF16_DF16_ffEEvb20rocsparse_direction_T3_S2_llNS_24const_host_device_scalarIT7_EEPKT2_PKS2_PKT4_S2_PKT5_llS5_PT6_ll16rocsparse_order_21rocsparse_index_base_b.has_recursion, 0
	.set _ZN9rocsparseL31bsrmm_large_blockdim_kernel_extILj4ELj16ELj2EiiDF16_DF16_ffEEvb20rocsparse_direction_T3_S2_llNS_24const_host_device_scalarIT7_EEPKT2_PKS2_PKT4_S2_PKT5_llS5_PT6_ll16rocsparse_order_21rocsparse_index_base_b.has_indirect_call, 0
	.section	.AMDGPU.csdata,"",@progbits
; Kernel info:
; codeLenInByte = 1640
; TotalNumSgprs: 32
; NumVgprs: 26
; ScratchSize: 0
; MemoryBound: 0
; FloatMode: 240
; IeeeMode: 1
; LDSByteSize: 576 bytes/workgroup (compile time only)
; SGPRBlocks: 0
; VGPRBlocks: 1
; NumSGPRsForWavesPerEU: 32
; NumVGPRsForWavesPerEU: 26
; NamedBarCnt: 0
; Occupancy: 16
; WaveLimiterHint : 1
; COMPUTE_PGM_RSRC2:SCRATCH_EN: 0
; COMPUTE_PGM_RSRC2:USER_SGPR: 2
; COMPUTE_PGM_RSRC2:TRAP_HANDLER: 0
; COMPUTE_PGM_RSRC2:TGID_X_EN: 1
; COMPUTE_PGM_RSRC2:TGID_Y_EN: 1
; COMPUTE_PGM_RSRC2:TGID_Z_EN: 0
; COMPUTE_PGM_RSRC2:TIDIG_COMP_CNT: 1
	.section	.text._ZN9rocsparseL31bsrmm_large_blockdim_kernel_extILj16ELj16ELj2EiiDF16_DF16_ffEEvb20rocsparse_direction_T3_S2_llNS_24const_host_device_scalarIT7_EEPKT2_PKS2_PKT4_S2_PKT5_llS5_PT6_ll16rocsparse_order_21rocsparse_index_base_b,"axG",@progbits,_ZN9rocsparseL31bsrmm_large_blockdim_kernel_extILj16ELj16ELj2EiiDF16_DF16_ffEEvb20rocsparse_direction_T3_S2_llNS_24const_host_device_scalarIT7_EEPKT2_PKS2_PKT4_S2_PKT5_llS5_PT6_ll16rocsparse_order_21rocsparse_index_base_b,comdat
	.globl	_ZN9rocsparseL31bsrmm_large_blockdim_kernel_extILj16ELj16ELj2EiiDF16_DF16_ffEEvb20rocsparse_direction_T3_S2_llNS_24const_host_device_scalarIT7_EEPKT2_PKS2_PKT4_S2_PKT5_llS5_PT6_ll16rocsparse_order_21rocsparse_index_base_b ; -- Begin function _ZN9rocsparseL31bsrmm_large_blockdim_kernel_extILj16ELj16ELj2EiiDF16_DF16_ffEEvb20rocsparse_direction_T3_S2_llNS_24const_host_device_scalarIT7_EEPKT2_PKS2_PKT4_S2_PKT5_llS5_PT6_ll16rocsparse_order_21rocsparse_index_base_b
	.p2align	8
	.type	_ZN9rocsparseL31bsrmm_large_blockdim_kernel_extILj16ELj16ELj2EiiDF16_DF16_ffEEvb20rocsparse_direction_T3_S2_llNS_24const_host_device_scalarIT7_EEPKT2_PKS2_PKT4_S2_PKT5_llS5_PT6_ll16rocsparse_order_21rocsparse_index_base_b,@function
_ZN9rocsparseL31bsrmm_large_blockdim_kernel_extILj16ELj16ELj2EiiDF16_DF16_ffEEvb20rocsparse_direction_T3_S2_llNS_24const_host_device_scalarIT7_EEPKT2_PKS2_PKT4_S2_PKT5_llS5_PT6_ll16rocsparse_order_21rocsparse_index_base_b: ; @_ZN9rocsparseL31bsrmm_large_blockdim_kernel_extILj16ELj16ELj2EiiDF16_DF16_ffEEvb20rocsparse_direction_T3_S2_llNS_24const_host_device_scalarIT7_EEPKT2_PKS2_PKT4_S2_PKT5_llS5_PT6_ll16rocsparse_order_21rocsparse_index_base_b
; %bb.0:
	s_clause 0x2
	s_load_b96 s[20:22], s[0:1], 0x80
	s_load_b64 s[6:7], s[0:1], 0x20
	s_load_b64 s[24:25], s[0:1], 0x60
	s_wait_kmcnt 0x0
	s_bitcmp1_b32 s22, 0
	s_cselect_b32 s2, -1, 0
	s_delay_alu instid0(SALU_CYCLE_1)
	s_and_b32 vcc_lo, exec_lo, s2
	s_xor_b32 s2, s2, -1
	s_cbranch_vccnz .LBB50_2
; %bb.1:
	s_load_b32 s6, s[6:7], 0x0
.LBB50_2:
	s_and_not1_b32 vcc_lo, exec_lo, s2
	s_cbranch_vccnz .LBB50_4
; %bb.3:
	s_load_b32 s24, s[24:25], 0x0
.LBB50_4:
	s_wait_kmcnt 0x0
	s_cmp_eq_f32 s6, 0
	s_mov_b32 s26, 0
	s_cselect_b32 s2, -1, 0
	s_cmp_eq_f32 s24, 1.0
	s_cselect_b32 s3, -1, 0
	s_delay_alu instid0(SALU_CYCLE_1) | instskip(NEXT) | instid1(SALU_CYCLE_1)
	s_and_b32 s2, s2, s3
	s_and_b32 vcc_lo, exec_lo, s2
	s_cbranch_vccnz .LBB50_48
; %bb.5:
	s_clause 0x1
	s_load_b128 s[8:11], s[0:1], 0x0
	s_load_b64 s[2:3], s[0:1], 0x28
	s_bfe_u32 s4, ttmp6, 0x4000c
	s_and_b32 s5, ttmp6, 15
	s_add_co_i32 s4, s4, 1
	s_delay_alu instid0(SALU_CYCLE_1)
	s_mul_i32 s7, ttmp9, s4
	s_getreg_b32 s4, hwreg(HW_REG_IB_STS2, 6, 4)
	s_add_co_i32 s5, s5, s7
	s_cmp_eq_u32 s4, 0
	s_cselect_b32 s22, ttmp9, s5
	s_wait_kmcnt 0x0
	s_cmp_lt_i32 s22, s10
	s_cselect_b32 s7, -1, 0
	s_cmp_ge_i32 s22, s10
	s_cbranch_scc1 .LBB50_7
; %bb.6:
	s_ashr_i32 s23, s22, 31
	s_delay_alu instid0(SALU_CYCLE_1) | instskip(NEXT) | instid1(SALU_CYCLE_1)
	s_lshl_b64 s[12:13], s[22:23], 2
	s_add_nc_u64 s[12:13], s[2:3], s[12:13]
	s_load_b32 s5, s[12:13], 0x0
	s_wait_kmcnt 0x0
	s_sub_co_i32 s26, s5, s21
.LBB50_7:
	s_and_not1_b32 vcc_lo, exec_lo, s7
	s_mov_b32 s23, 0
	s_cbranch_vccnz .LBB50_9
; %bb.8:
	s_ashr_i32 s23, s22, 31
	s_delay_alu instid0(SALU_CYCLE_1) | instskip(NEXT) | instid1(SALU_CYCLE_1)
	s_lshl_b64 s[12:13], s[22:23], 2
	s_add_nc_u64 s[2:3], s[2:3], s[12:13]
	s_load_b32 s2, s[2:3], 0x4
	s_wait_kmcnt 0x0
	s_sub_co_i32 s23, s2, s21
.LBB50_9:
	s_bfe_u32 s2, ttmp6, 0x40010
	s_bfe_u32 s3, ttmp6, 0x40004
	s_add_co_i32 s2, s2, 1
	s_load_b32 s10, s[0:1], 0x40
	s_mul_i32 s2, ttmp7, s2
	v_bfe_u32 v2, v0, 10, 10
	s_add_co_i32 s3, s3, s2
	s_cmp_eq_u32 s4, 0
	v_and_b32_e32 v14, 0x3ff, v0
	s_cselect_b32 s2, ttmp7, s3
	s_cmp_ge_i32 s26, s23
	v_lshl_add_u32 v4, s2, 5, v2
	s_delay_alu instid0(VALU_DEP_1) | instskip(SKIP_1) | instid1(VALU_DEP_2)
	v_add_nc_u32_e32 v0, 16, v4
	v_cmp_gt_i32_e64 s2, s11, v4
	v_cmp_gt_i32_e64 s3, s11, v0
	s_wait_kmcnt 0x0
	v_cmp_gt_i32_e32 vcc_lo, s10, v14
	s_cbranch_scc1 .LBB50_27
; %bb.10:
	s_clause 0x1
	s_load_b128 s[12:15], s[0:1], 0x48
	s_load_b128 s[16:19], s[0:1], 0x30
	v_dual_ashrrev_i32 v5, 31, v4 :: v_dual_lshlrev_b32 v15, 6, v2
	v_dual_ashrrev_i32 v1, 31, v0 :: v_dual_lshlrev_b32 v12, 6, v14
	v_cmp_gt_i32_e64 s4, s10, v2
	v_mad_u32 v3, s10, v2, v14
	v_mad_u32 v10, s10, v14, v2
	v_lshl_add_u32 v11, v2, 2, 0x800
	v_lshlrev_b32_e32 v13, 2, v14
	s_and_b32 s25, vcc_lo, s4
	s_bitcmp1_b32 s8, 0
	v_add_nc_u32_e32 v17, 0x800, v12
	s_cselect_b32 s4, -1, 0
	s_cmp_eq_u32 s9, 0
	v_add_nc_u32_e32 v20, v11, v12
	s_cselect_b32 s5, -1, 0
	v_add_nc_u32_e32 v18, 0x400, v15
	v_dual_cndmask_b32 v16, v3, v10, s5 :: v_dual_add_nc_u32 v19, v13, v15
	s_wait_kmcnt 0x0
	v_mul_u64_e32 v[6:7], s[14:15], v[4:5]
	v_mul_u64_e32 v[8:9], s[14:15], v[0:1]
	v_mov_b64_e32 v[2:3], 0
	s_mul_i32 s5, s10, s10
	s_branch .LBB50_13
.LBB50_11:                              ;   in Loop: Header=BB50_13 Depth=1
	s_or_b32 exec_lo, exec_lo, s9
.LBB50_12:                              ;   in Loop: Header=BB50_13 Depth=1
	s_delay_alu instid0(SALU_CYCLE_1) | instskip(SKIP_1) | instid1(SALU_CYCLE_1)
	s_or_b32 exec_lo, exec_lo, s8
	s_add_co_i32 s26, s26, 1
	s_cmp_ge_i32 s26, s23
	s_barrier_signal -1
	s_barrier_wait -1
	s_cbranch_scc1 .LBB50_28
.LBB50_13:                              ; =>This Loop Header: Depth=1
                                        ;     Child Loop BB50_23 Depth 2
                                        ;     Child Loop BB50_26 Depth 2
	s_and_saveexec_b32 s8, vcc_lo
	s_cbranch_execz .LBB50_18
; %bb.14:                               ;   in Loop: Header=BB50_13 Depth=1
	s_ashr_i32 s27, s26, 31
	s_delay_alu instid0(SALU_CYCLE_1) | instskip(NEXT) | instid1(SALU_CYCLE_1)
	s_lshl_b64 s[28:29], s[26:27], 2
	s_add_nc_u64 s[28:29], s[16:17], s[28:29]
	s_load_b32 s9, s[28:29], 0x0
	s_wait_kmcnt 0x0
	s_sub_co_i32 s9, s9, s21
	s_delay_alu instid0(SALU_CYCLE_1) | instskip(NEXT) | instid1(VALU_DEP_1)
	v_mad_u32 v12, s9, s10, v14
	v_ashrrev_i32_e32 v13, 31, v12
	s_delay_alu instid0(VALU_DEP_1) | instskip(SKIP_1) | instid1(VALU_DEP_2)
	v_mul_u64_e32 v[10:11], s[14:15], v[12:13]
	v_lshl_add_u64 v[12:13], v[12:13], 1, s[12:13]
	v_lshl_add_u64 v[10:11], v[10:11], 1, s[12:13]
	s_and_saveexec_b32 s9, s2
	s_cbranch_execz .LBB50_16
; %bb.15:                               ;   in Loop: Header=BB50_13 Depth=1
	s_delay_alu instid0(VALU_DEP_1) | instskip(SKIP_1) | instid1(VALU_DEP_1)
	v_lshl_add_u64 v[22:23], v[4:5], 1, v[10:11]
	v_lshl_add_u64 v[24:25], v[6:7], 1, v[12:13]
	v_dual_cndmask_b32 v23, v23, v25, s4 :: v_dual_cndmask_b32 v22, v22, v24, s4
	global_load_u16 v21, v[22:23], off
	s_wait_loadcnt 0x0
	v_cvt_f32_f16_e32 v21, v21
	ds_store_b32 v19, v21
.LBB50_16:                              ;   in Loop: Header=BB50_13 Depth=1
	s_or_b32 exec_lo, exec_lo, s9
	s_delay_alu instid0(SALU_CYCLE_1)
	s_and_b32 exec_lo, exec_lo, s3
	s_cbranch_execz .LBB50_18
; %bb.17:                               ;   in Loop: Header=BB50_13 Depth=1
	v_lshl_add_u64 v[12:13], v[8:9], 1, v[12:13]
	v_lshl_add_u64 v[10:11], v[0:1], 1, v[10:11]
	s_delay_alu instid0(VALU_DEP_1)
	v_dual_cndmask_b32 v11, v11, v13, s4 :: v_dual_cndmask_b32 v10, v10, v12, s4
	global_load_u16 v10, v[10:11], off
	s_wait_loadcnt 0x0
	v_cvt_f32_f16_e32 v10, v10
	ds_store_b32 v19, v10 offset:1024
.LBB50_18:                              ;   in Loop: Header=BB50_13 Depth=1
	s_or_b32 exec_lo, exec_lo, s8
	s_and_saveexec_b32 s8, s25
	s_cbranch_execz .LBB50_20
; %bb.19:                               ;   in Loop: Header=BB50_13 Depth=1
	v_mad_u32 v10, s5, s26, v16
	global_load_u16 v10, v10, s[18:19] scale_offset
	s_wait_loadcnt 0x0
	v_cvt_f32_f16_e32 v10, v10
	ds_store_b32 v20, v10
.LBB50_20:                              ;   in Loop: Header=BB50_13 Depth=1
	s_or_b32 exec_lo, exec_lo, s8
	s_wait_dscnt 0x0
	s_barrier_signal -1
	s_barrier_wait -1
	s_and_saveexec_b32 s8, vcc_lo
	s_cbranch_execz .LBB50_12
; %bb.21:                               ;   in Loop: Header=BB50_13 Depth=1
	s_and_saveexec_b32 s9, s2
	s_cbranch_execz .LBB50_24
; %bb.22:                               ;   in Loop: Header=BB50_13 Depth=1
	v_dual_mov_b32 v10, v17 :: v_dual_mov_b32 v11, v15
	s_mov_b32 s27, s10
.LBB50_23:                              ;   Parent Loop BB50_13 Depth=1
                                        ; =>  This Inner Loop Header: Depth=2
	ds_load_b32 v12, v10
	ds_load_b32 v13, v11
	v_dual_add_nc_u32 v11, 4, v11 :: v_dual_add_nc_u32 v10, 4, v10
	s_add_co_i32 s27, s27, -1
	s_delay_alu instid0(SALU_CYCLE_1)
	s_cmp_lg_u32 s27, 0
	s_wait_dscnt 0x0
	v_fma_f32 v2, v12, v13, v2
	s_cbranch_scc1 .LBB50_23
.LBB50_24:                              ;   in Loop: Header=BB50_13 Depth=1
	s_or_b32 exec_lo, exec_lo, s9
	s_and_saveexec_b32 s9, s3
	s_cbranch_execz .LBB50_11
; %bb.25:                               ;   in Loop: Header=BB50_13 Depth=1
	v_dual_mov_b32 v10, v17 :: v_dual_mov_b32 v11, v18
	s_mov_b32 s27, s10
.LBB50_26:                              ;   Parent Loop BB50_13 Depth=1
                                        ; =>  This Inner Loop Header: Depth=2
	ds_load_b32 v12, v10
	ds_load_b32 v13, v11
	v_dual_add_nc_u32 v11, 4, v11 :: v_dual_add_nc_u32 v10, 4, v10
	s_add_co_i32 s27, s27, -1
	s_delay_alu instid0(SALU_CYCLE_1)
	s_cmp_lg_u32 s27, 0
	s_wait_dscnt 0x0
	v_fma_f32 v3, v12, v13, v3
	s_cbranch_scc1 .LBB50_26
	s_branch .LBB50_11
.LBB50_27:
	v_mov_b64_e32 v[2:3], 0
.LBB50_28:
	s_load_b64 s[4:5], s[0:1], 0x68
	s_and_b32 s2, s7, vcc_lo
	s_delay_alu instid0(SALU_CYCLE_1)
	s_and_saveexec_b32 s3, s2
	s_cbranch_execz .LBB50_48
; %bb.29:
	s_load_b64 s[2:3], s[0:1], 0x70
	v_mad_u32 v6, s10, s22, v14
	s_cmp_neq_f32 s24, 0
	s_wait_xcnt 0x0
	s_mov_b32 s0, exec_lo
	s_cselect_b32 s7, -1, 0
	s_cmp_lg_u32 s20, 1
	s_cselect_b32 s1, -1, 0
	s_delay_alu instid0(VALU_DEP_1) | instskip(SKIP_1) | instid1(VALU_DEP_1)
	v_ashrrev_i32_e32 v7, 31, v6
	s_wait_kmcnt 0x0
	v_mul_u64_e32 v[8:9], s[2:3], v[6:7]
	v_lshl_add_u64 v[6:7], v[6:7], 2, s[4:5]
	s_delay_alu instid0(VALU_DEP_2)
	v_lshl_add_u64 v[8:9], v[8:9], 2, s[4:5]
	v_cmpx_gt_i32_e64 s11, v4
	s_cbranch_execz .LBB50_41
; %bb.30:
	v_ashrrev_i32_e32 v5, 31, v4
	s_and_b32 vcc_lo, exec_lo, s7
	s_cbranch_vccz .LBB50_36
; %bb.31:
	s_and_b32 vcc_lo, exec_lo, s1
	s_mov_b32 s4, -1
	s_cbranch_vccz .LBB50_33
; %bb.32:
	v_lshl_add_u64 v[10:11], v[4:5], 2, v[8:9]
	v_mul_f32_e32 v12, s6, v2
	s_mov_b32 s4, 0
	global_load_b32 v1, v[10:11], off
	s_wait_loadcnt 0x0
	v_fmac_f32_e32 v12, s24, v1
	global_store_b32 v[10:11], v12, off
.LBB50_33:
	s_and_not1_b32 vcc_lo, exec_lo, s4
	s_cbranch_vccnz .LBB50_35
; %bb.34:
	s_wait_xcnt 0x0
	v_mul_u64_e32 v[10:11], s[2:3], v[4:5]
	v_mul_f32_e32 v12, s6, v2
	s_delay_alu instid0(VALU_DEP_2)
	v_lshl_add_u64 v[10:11], v[10:11], 2, v[6:7]
	global_load_b32 v1, v[10:11], off
	s_wait_loadcnt 0x0
	v_fmac_f32_e32 v12, s24, v1
	global_store_b32 v[10:11], v12, off
.LBB50_35:
	s_cbranch_execz .LBB50_37
	s_branch .LBB50_41
.LBB50_36:
.LBB50_37:
	v_mul_f32_e32 v1, s6, v2
	s_and_b32 vcc_lo, exec_lo, s1
	s_mov_b32 s4, -1
	s_cbranch_vccz .LBB50_39
; %bb.38:
	s_wait_xcnt 0x0
	v_lshl_add_u64 v[10:11], v[4:5], 2, v[8:9]
	s_mov_b32 s4, 0
	global_store_b32 v[10:11], v1, off
.LBB50_39:
	s_and_not1_b32 vcc_lo, exec_lo, s4
	s_cbranch_vccnz .LBB50_41
; %bb.40:
	v_mul_u64_e32 v[4:5], s[2:3], v[4:5]
	s_delay_alu instid0(VALU_DEP_1)
	v_lshl_add_u64 v[4:5], v[4:5], 2, v[6:7]
	global_store_b32 v[4:5], v1, off
.LBB50_41:
	s_wait_xcnt 0x0
	s_or_b32 exec_lo, exec_lo, s0
	v_cmp_gt_i32_e32 vcc_lo, s11, v0
	s_and_b32 exec_lo, exec_lo, vcc_lo
	s_cbranch_execz .LBB50_48
; %bb.42:
	v_cndmask_b32_e64 v2, 0, 1, s1
	v_ashrrev_i32_e32 v1, 31, v0
	s_and_not1_b32 vcc_lo, exec_lo, s7
	s_delay_alu instid0(VALU_DEP_2)
	v_cmp_ne_u32_e64 s0, 1, v2
	s_cbranch_vccnz .LBB50_49
; %bb.43:
	s_and_b32 vcc_lo, exec_lo, s0
	s_mov_b32 s0, -1
	s_cbranch_vccnz .LBB50_45
; %bb.44:
	v_lshl_add_u64 v[4:5], v[0:1], 2, v[8:9]
	v_mul_f32_e32 v10, s6, v3
	s_mov_b32 s0, 0
	global_load_b32 v2, v[4:5], off
	s_wait_loadcnt 0x0
	v_fmac_f32_e32 v10, s24, v2
	global_store_b32 v[4:5], v10, off
.LBB50_45:
	s_and_not1_b32 vcc_lo, exec_lo, s0
	s_cbranch_vccnz .LBB50_47
; %bb.46:
	s_wait_xcnt 0x0
	v_mul_u64_e32 v[4:5], s[2:3], v[0:1]
	v_mul_f32_e32 v10, s6, v3
	s_delay_alu instid0(VALU_DEP_2)
	v_lshl_add_u64 v[4:5], v[4:5], 2, v[6:7]
	global_load_b32 v2, v[4:5], off
	s_wait_loadcnt 0x0
	v_fmac_f32_e32 v10, s24, v2
	global_store_b32 v[4:5], v10, off
.LBB50_47:
	s_cbranch_execz .LBB50_50
.LBB50_48:
	s_endpgm
.LBB50_49:
.LBB50_50:
	v_mul_f32_e32 v2, s6, v3
	s_and_not1_b32 vcc_lo, exec_lo, s1
	s_mov_b32 s0, -1
	s_cbranch_vccnz .LBB50_52
; %bb.51:
	s_wait_xcnt 0x0
	v_lshl_add_u64 v[4:5], v[0:1], 2, v[8:9]
	s_mov_b32 s0, 0
	global_store_b32 v[4:5], v2, off
.LBB50_52:
	s_and_not1_b32 vcc_lo, exec_lo, s0
	s_cbranch_vccnz .LBB50_48
; %bb.53:
	v_mul_u64_e32 v[0:1], s[2:3], v[0:1]
	s_delay_alu instid0(VALU_DEP_1)
	v_lshl_add_u64 v[0:1], v[0:1], 2, v[6:7]
	global_store_b32 v[0:1], v2, off
	s_endpgm
	.section	.rodata,"a",@progbits
	.p2align	6, 0x0
	.amdhsa_kernel _ZN9rocsparseL31bsrmm_large_blockdim_kernel_extILj16ELj16ELj2EiiDF16_DF16_ffEEvb20rocsparse_direction_T3_S2_llNS_24const_host_device_scalarIT7_EEPKT2_PKS2_PKT4_S2_PKT5_llS5_PT6_ll16rocsparse_order_21rocsparse_index_base_b
		.amdhsa_group_segment_fixed_size 3072
		.amdhsa_private_segment_fixed_size 0
		.amdhsa_kernarg_size 140
		.amdhsa_user_sgpr_count 2
		.amdhsa_user_sgpr_dispatch_ptr 0
		.amdhsa_user_sgpr_queue_ptr 0
		.amdhsa_user_sgpr_kernarg_segment_ptr 1
		.amdhsa_user_sgpr_dispatch_id 0
		.amdhsa_user_sgpr_kernarg_preload_length 0
		.amdhsa_user_sgpr_kernarg_preload_offset 0
		.amdhsa_user_sgpr_private_segment_size 0
		.amdhsa_wavefront_size32 1
		.amdhsa_uses_dynamic_stack 0
		.amdhsa_enable_private_segment 0
		.amdhsa_system_sgpr_workgroup_id_x 1
		.amdhsa_system_sgpr_workgroup_id_y 1
		.amdhsa_system_sgpr_workgroup_id_z 0
		.amdhsa_system_sgpr_workgroup_info 0
		.amdhsa_system_vgpr_workitem_id 1
		.amdhsa_next_free_vgpr 26
		.amdhsa_next_free_sgpr 30
		.amdhsa_named_barrier_count 0
		.amdhsa_reserve_vcc 1
		.amdhsa_float_round_mode_32 0
		.amdhsa_float_round_mode_16_64 0
		.amdhsa_float_denorm_mode_32 3
		.amdhsa_float_denorm_mode_16_64 3
		.amdhsa_fp16_overflow 0
		.amdhsa_memory_ordered 1
		.amdhsa_forward_progress 1
		.amdhsa_inst_pref_size 13
		.amdhsa_round_robin_scheduling 0
		.amdhsa_exception_fp_ieee_invalid_op 0
		.amdhsa_exception_fp_denorm_src 0
		.amdhsa_exception_fp_ieee_div_zero 0
		.amdhsa_exception_fp_ieee_overflow 0
		.amdhsa_exception_fp_ieee_underflow 0
		.amdhsa_exception_fp_ieee_inexact 0
		.amdhsa_exception_int_div_zero 0
	.end_amdhsa_kernel
	.section	.text._ZN9rocsparseL31bsrmm_large_blockdim_kernel_extILj16ELj16ELj2EiiDF16_DF16_ffEEvb20rocsparse_direction_T3_S2_llNS_24const_host_device_scalarIT7_EEPKT2_PKS2_PKT4_S2_PKT5_llS5_PT6_ll16rocsparse_order_21rocsparse_index_base_b,"axG",@progbits,_ZN9rocsparseL31bsrmm_large_blockdim_kernel_extILj16ELj16ELj2EiiDF16_DF16_ffEEvb20rocsparse_direction_T3_S2_llNS_24const_host_device_scalarIT7_EEPKT2_PKS2_PKT4_S2_PKT5_llS5_PT6_ll16rocsparse_order_21rocsparse_index_base_b,comdat
.Lfunc_end50:
	.size	_ZN9rocsparseL31bsrmm_large_blockdim_kernel_extILj16ELj16ELj2EiiDF16_DF16_ffEEvb20rocsparse_direction_T3_S2_llNS_24const_host_device_scalarIT7_EEPKT2_PKS2_PKT4_S2_PKT5_llS5_PT6_ll16rocsparse_order_21rocsparse_index_base_b, .Lfunc_end50-_ZN9rocsparseL31bsrmm_large_blockdim_kernel_extILj16ELj16ELj2EiiDF16_DF16_ffEEvb20rocsparse_direction_T3_S2_llNS_24const_host_device_scalarIT7_EEPKT2_PKS2_PKT4_S2_PKT5_llS5_PT6_ll16rocsparse_order_21rocsparse_index_base_b
                                        ; -- End function
	.set _ZN9rocsparseL31bsrmm_large_blockdim_kernel_extILj16ELj16ELj2EiiDF16_DF16_ffEEvb20rocsparse_direction_T3_S2_llNS_24const_host_device_scalarIT7_EEPKT2_PKS2_PKT4_S2_PKT5_llS5_PT6_ll16rocsparse_order_21rocsparse_index_base_b.num_vgpr, 26
	.set _ZN9rocsparseL31bsrmm_large_blockdim_kernel_extILj16ELj16ELj2EiiDF16_DF16_ffEEvb20rocsparse_direction_T3_S2_llNS_24const_host_device_scalarIT7_EEPKT2_PKS2_PKT4_S2_PKT5_llS5_PT6_ll16rocsparse_order_21rocsparse_index_base_b.num_agpr, 0
	.set _ZN9rocsparseL31bsrmm_large_blockdim_kernel_extILj16ELj16ELj2EiiDF16_DF16_ffEEvb20rocsparse_direction_T3_S2_llNS_24const_host_device_scalarIT7_EEPKT2_PKS2_PKT4_S2_PKT5_llS5_PT6_ll16rocsparse_order_21rocsparse_index_base_b.numbered_sgpr, 30
	.set _ZN9rocsparseL31bsrmm_large_blockdim_kernel_extILj16ELj16ELj2EiiDF16_DF16_ffEEvb20rocsparse_direction_T3_S2_llNS_24const_host_device_scalarIT7_EEPKT2_PKS2_PKT4_S2_PKT5_llS5_PT6_ll16rocsparse_order_21rocsparse_index_base_b.num_named_barrier, 0
	.set _ZN9rocsparseL31bsrmm_large_blockdim_kernel_extILj16ELj16ELj2EiiDF16_DF16_ffEEvb20rocsparse_direction_T3_S2_llNS_24const_host_device_scalarIT7_EEPKT2_PKS2_PKT4_S2_PKT5_llS5_PT6_ll16rocsparse_order_21rocsparse_index_base_b.private_seg_size, 0
	.set _ZN9rocsparseL31bsrmm_large_blockdim_kernel_extILj16ELj16ELj2EiiDF16_DF16_ffEEvb20rocsparse_direction_T3_S2_llNS_24const_host_device_scalarIT7_EEPKT2_PKS2_PKT4_S2_PKT5_llS5_PT6_ll16rocsparse_order_21rocsparse_index_base_b.uses_vcc, 1
	.set _ZN9rocsparseL31bsrmm_large_blockdim_kernel_extILj16ELj16ELj2EiiDF16_DF16_ffEEvb20rocsparse_direction_T3_S2_llNS_24const_host_device_scalarIT7_EEPKT2_PKS2_PKT4_S2_PKT5_llS5_PT6_ll16rocsparse_order_21rocsparse_index_base_b.uses_flat_scratch, 0
	.set _ZN9rocsparseL31bsrmm_large_blockdim_kernel_extILj16ELj16ELj2EiiDF16_DF16_ffEEvb20rocsparse_direction_T3_S2_llNS_24const_host_device_scalarIT7_EEPKT2_PKS2_PKT4_S2_PKT5_llS5_PT6_ll16rocsparse_order_21rocsparse_index_base_b.has_dyn_sized_stack, 0
	.set _ZN9rocsparseL31bsrmm_large_blockdim_kernel_extILj16ELj16ELj2EiiDF16_DF16_ffEEvb20rocsparse_direction_T3_S2_llNS_24const_host_device_scalarIT7_EEPKT2_PKS2_PKT4_S2_PKT5_llS5_PT6_ll16rocsparse_order_21rocsparse_index_base_b.has_recursion, 0
	.set _ZN9rocsparseL31bsrmm_large_blockdim_kernel_extILj16ELj16ELj2EiiDF16_DF16_ffEEvb20rocsparse_direction_T3_S2_llNS_24const_host_device_scalarIT7_EEPKT2_PKS2_PKT4_S2_PKT5_llS5_PT6_ll16rocsparse_order_21rocsparse_index_base_b.has_indirect_call, 0
	.section	.AMDGPU.csdata,"",@progbits
; Kernel info:
; codeLenInByte = 1640
; TotalNumSgprs: 32
; NumVgprs: 26
; ScratchSize: 0
; MemoryBound: 0
; FloatMode: 240
; IeeeMode: 1
; LDSByteSize: 3072 bytes/workgroup (compile time only)
; SGPRBlocks: 0
; VGPRBlocks: 1
; NumSGPRsForWavesPerEU: 32
; NumVGPRsForWavesPerEU: 26
; NamedBarCnt: 0
; Occupancy: 16
; WaveLimiterHint : 1
; COMPUTE_PGM_RSRC2:SCRATCH_EN: 0
; COMPUTE_PGM_RSRC2:USER_SGPR: 2
; COMPUTE_PGM_RSRC2:TRAP_HANDLER: 0
; COMPUTE_PGM_RSRC2:TGID_X_EN: 1
; COMPUTE_PGM_RSRC2:TGID_Y_EN: 1
; COMPUTE_PGM_RSRC2:TGID_Z_EN: 0
; COMPUTE_PGM_RSRC2:TIDIG_COMP_CNT: 1
	.section	.text._ZN9rocsparseL31bsrmm_large_blockdim_kernel_extILj32ELj32ELj2EiiDF16_DF16_ffEEvb20rocsparse_direction_T3_S2_llNS_24const_host_device_scalarIT7_EEPKT2_PKS2_PKT4_S2_PKT5_llS5_PT6_ll16rocsparse_order_21rocsparse_index_base_b,"axG",@progbits,_ZN9rocsparseL31bsrmm_large_blockdim_kernel_extILj32ELj32ELj2EiiDF16_DF16_ffEEvb20rocsparse_direction_T3_S2_llNS_24const_host_device_scalarIT7_EEPKT2_PKS2_PKT4_S2_PKT5_llS5_PT6_ll16rocsparse_order_21rocsparse_index_base_b,comdat
	.globl	_ZN9rocsparseL31bsrmm_large_blockdim_kernel_extILj32ELj32ELj2EiiDF16_DF16_ffEEvb20rocsparse_direction_T3_S2_llNS_24const_host_device_scalarIT7_EEPKT2_PKS2_PKT4_S2_PKT5_llS5_PT6_ll16rocsparse_order_21rocsparse_index_base_b ; -- Begin function _ZN9rocsparseL31bsrmm_large_blockdim_kernel_extILj32ELj32ELj2EiiDF16_DF16_ffEEvb20rocsparse_direction_T3_S2_llNS_24const_host_device_scalarIT7_EEPKT2_PKS2_PKT4_S2_PKT5_llS5_PT6_ll16rocsparse_order_21rocsparse_index_base_b
	.p2align	8
	.type	_ZN9rocsparseL31bsrmm_large_blockdim_kernel_extILj32ELj32ELj2EiiDF16_DF16_ffEEvb20rocsparse_direction_T3_S2_llNS_24const_host_device_scalarIT7_EEPKT2_PKS2_PKT4_S2_PKT5_llS5_PT6_ll16rocsparse_order_21rocsparse_index_base_b,@function
_ZN9rocsparseL31bsrmm_large_blockdim_kernel_extILj32ELj32ELj2EiiDF16_DF16_ffEEvb20rocsparse_direction_T3_S2_llNS_24const_host_device_scalarIT7_EEPKT2_PKS2_PKT4_S2_PKT5_llS5_PT6_ll16rocsparse_order_21rocsparse_index_base_b: ; @_ZN9rocsparseL31bsrmm_large_blockdim_kernel_extILj32ELj32ELj2EiiDF16_DF16_ffEEvb20rocsparse_direction_T3_S2_llNS_24const_host_device_scalarIT7_EEPKT2_PKS2_PKT4_S2_PKT5_llS5_PT6_ll16rocsparse_order_21rocsparse_index_base_b
; %bb.0:
	s_clause 0x2
	s_load_b96 s[20:22], s[0:1], 0x80
	s_load_b64 s[6:7], s[0:1], 0x20
	s_load_b64 s[24:25], s[0:1], 0x60
	s_wait_kmcnt 0x0
	s_bitcmp1_b32 s22, 0
	s_cselect_b32 s2, -1, 0
	s_delay_alu instid0(SALU_CYCLE_1)
	s_and_b32 vcc_lo, exec_lo, s2
	s_xor_b32 s2, s2, -1
	s_cbranch_vccnz .LBB51_2
; %bb.1:
	s_load_b32 s6, s[6:7], 0x0
.LBB51_2:
	s_and_not1_b32 vcc_lo, exec_lo, s2
	s_cbranch_vccnz .LBB51_4
; %bb.3:
	s_load_b32 s24, s[24:25], 0x0
.LBB51_4:
	s_wait_kmcnt 0x0
	s_cmp_eq_f32 s6, 0
	s_mov_b32 s26, 0
	s_cselect_b32 s2, -1, 0
	s_cmp_eq_f32 s24, 1.0
	s_cselect_b32 s3, -1, 0
	s_delay_alu instid0(SALU_CYCLE_1) | instskip(NEXT) | instid1(SALU_CYCLE_1)
	s_and_b32 s2, s2, s3
	s_and_b32 vcc_lo, exec_lo, s2
	s_cbranch_vccnz .LBB51_48
; %bb.5:
	s_clause 0x1
	s_load_b128 s[8:11], s[0:1], 0x0
	s_load_b64 s[2:3], s[0:1], 0x28
	s_bfe_u32 s4, ttmp6, 0x4000c
	s_and_b32 s5, ttmp6, 15
	s_add_co_i32 s4, s4, 1
	s_delay_alu instid0(SALU_CYCLE_1)
	s_mul_i32 s7, ttmp9, s4
	s_getreg_b32 s4, hwreg(HW_REG_IB_STS2, 6, 4)
	s_add_co_i32 s5, s5, s7
	s_cmp_eq_u32 s4, 0
	s_cselect_b32 s22, ttmp9, s5
	s_wait_kmcnt 0x0
	s_cmp_lt_i32 s22, s10
	s_cselect_b32 s7, -1, 0
	s_cmp_ge_i32 s22, s10
	s_cbranch_scc1 .LBB51_7
; %bb.6:
	s_ashr_i32 s23, s22, 31
	s_delay_alu instid0(SALU_CYCLE_1) | instskip(NEXT) | instid1(SALU_CYCLE_1)
	s_lshl_b64 s[12:13], s[22:23], 2
	s_add_nc_u64 s[12:13], s[2:3], s[12:13]
	s_load_b32 s5, s[12:13], 0x0
	s_wait_kmcnt 0x0
	s_sub_co_i32 s26, s5, s21
.LBB51_7:
	s_and_not1_b32 vcc_lo, exec_lo, s7
	s_mov_b32 s23, 0
	s_cbranch_vccnz .LBB51_9
; %bb.8:
	s_ashr_i32 s23, s22, 31
	s_delay_alu instid0(SALU_CYCLE_1) | instskip(NEXT) | instid1(SALU_CYCLE_1)
	s_lshl_b64 s[12:13], s[22:23], 2
	s_add_nc_u64 s[2:3], s[2:3], s[12:13]
	s_load_b32 s2, s[2:3], 0x4
	s_wait_kmcnt 0x0
	s_sub_co_i32 s23, s2, s21
.LBB51_9:
	s_bfe_u32 s2, ttmp6, 0x40010
	s_bfe_u32 s3, ttmp6, 0x40004
	s_add_co_i32 s2, s2, 1
	s_load_b32 s10, s[0:1], 0x40
	s_mul_i32 s2, ttmp7, s2
	v_bfe_u32 v2, v0, 10, 10
	s_add_co_i32 s3, s3, s2
	s_cmp_eq_u32 s4, 0
	v_and_b32_e32 v14, 0x3ff, v0
	s_cselect_b32 s2, ttmp7, s3
	s_cmp_ge_i32 s26, s23
	v_lshl_add_u32 v4, s2, 6, v2
	s_delay_alu instid0(VALU_DEP_1) | instskip(SKIP_1) | instid1(VALU_DEP_2)
	v_add_nc_u32_e32 v0, 32, v4
	v_cmp_gt_i32_e64 s2, s11, v4
	v_cmp_gt_i32_e64 s3, s11, v0
	s_wait_kmcnt 0x0
	v_cmp_gt_i32_e32 vcc_lo, s10, v14
	s_cbranch_scc1 .LBB51_27
; %bb.10:
	s_clause 0x1
	s_load_b128 s[12:15], s[0:1], 0x48
	s_load_b128 s[16:19], s[0:1], 0x30
	v_dual_ashrrev_i32 v5, 31, v4 :: v_dual_lshlrev_b32 v15, 7, v2
	v_dual_ashrrev_i32 v1, 31, v0 :: v_dual_lshlrev_b32 v12, 7, v14
	v_cmp_gt_i32_e64 s4, s10, v2
	v_mad_u32 v3, s10, v2, v14
	v_mad_u32 v10, s10, v14, v2
	v_lshl_or_b32 v11, v2, 2, 0x2000
	v_lshlrev_b32_e32 v13, 2, v14
	s_and_b32 s25, vcc_lo, s4
	s_bitcmp1_b32 s8, 0
	v_add_nc_u32_e32 v17, 0x2000, v12
	s_cselect_b32 s4, -1, 0
	s_cmp_eq_u32 s9, 0
	v_add_nc_u32_e32 v20, v11, v12
	s_cselect_b32 s5, -1, 0
	v_add_nc_u32_e32 v18, 0x1000, v15
	v_dual_cndmask_b32 v16, v3, v10, s5 :: v_dual_add_nc_u32 v19, v13, v15
	s_wait_kmcnt 0x0
	v_mul_u64_e32 v[6:7], s[14:15], v[4:5]
	v_mul_u64_e32 v[8:9], s[14:15], v[0:1]
	v_mov_b64_e32 v[2:3], 0
	s_mul_i32 s5, s10, s10
	s_branch .LBB51_13
.LBB51_11:                              ;   in Loop: Header=BB51_13 Depth=1
	s_or_b32 exec_lo, exec_lo, s9
.LBB51_12:                              ;   in Loop: Header=BB51_13 Depth=1
	s_delay_alu instid0(SALU_CYCLE_1) | instskip(SKIP_1) | instid1(SALU_CYCLE_1)
	s_or_b32 exec_lo, exec_lo, s8
	s_add_co_i32 s26, s26, 1
	s_cmp_ge_i32 s26, s23
	s_barrier_signal -1
	s_barrier_wait -1
	s_cbranch_scc1 .LBB51_28
.LBB51_13:                              ; =>This Loop Header: Depth=1
                                        ;     Child Loop BB51_23 Depth 2
                                        ;     Child Loop BB51_26 Depth 2
	s_and_saveexec_b32 s8, vcc_lo
	s_cbranch_execz .LBB51_18
; %bb.14:                               ;   in Loop: Header=BB51_13 Depth=1
	s_ashr_i32 s27, s26, 31
	s_delay_alu instid0(SALU_CYCLE_1) | instskip(NEXT) | instid1(SALU_CYCLE_1)
	s_lshl_b64 s[28:29], s[26:27], 2
	s_add_nc_u64 s[28:29], s[16:17], s[28:29]
	s_load_b32 s9, s[28:29], 0x0
	s_wait_kmcnt 0x0
	s_sub_co_i32 s9, s9, s21
	s_delay_alu instid0(SALU_CYCLE_1) | instskip(NEXT) | instid1(VALU_DEP_1)
	v_mad_u32 v12, s9, s10, v14
	v_ashrrev_i32_e32 v13, 31, v12
	s_delay_alu instid0(VALU_DEP_1) | instskip(SKIP_1) | instid1(VALU_DEP_2)
	v_mul_u64_e32 v[10:11], s[14:15], v[12:13]
	v_lshl_add_u64 v[12:13], v[12:13], 1, s[12:13]
	v_lshl_add_u64 v[10:11], v[10:11], 1, s[12:13]
	s_and_saveexec_b32 s9, s2
	s_cbranch_execz .LBB51_16
; %bb.15:                               ;   in Loop: Header=BB51_13 Depth=1
	s_delay_alu instid0(VALU_DEP_1) | instskip(SKIP_1) | instid1(VALU_DEP_1)
	v_lshl_add_u64 v[22:23], v[4:5], 1, v[10:11]
	v_lshl_add_u64 v[24:25], v[6:7], 1, v[12:13]
	v_dual_cndmask_b32 v23, v23, v25, s4 :: v_dual_cndmask_b32 v22, v22, v24, s4
	global_load_u16 v21, v[22:23], off
	s_wait_loadcnt 0x0
	v_cvt_f32_f16_e32 v21, v21
	ds_store_b32 v19, v21
.LBB51_16:                              ;   in Loop: Header=BB51_13 Depth=1
	s_or_b32 exec_lo, exec_lo, s9
	s_delay_alu instid0(SALU_CYCLE_1)
	s_and_b32 exec_lo, exec_lo, s3
	s_cbranch_execz .LBB51_18
; %bb.17:                               ;   in Loop: Header=BB51_13 Depth=1
	v_lshl_add_u64 v[12:13], v[8:9], 1, v[12:13]
	v_lshl_add_u64 v[10:11], v[0:1], 1, v[10:11]
	s_delay_alu instid0(VALU_DEP_1)
	v_dual_cndmask_b32 v11, v11, v13, s4 :: v_dual_cndmask_b32 v10, v10, v12, s4
	global_load_u16 v10, v[10:11], off
	s_wait_loadcnt 0x0
	v_cvt_f32_f16_e32 v10, v10
	ds_store_b32 v19, v10 offset:4096
.LBB51_18:                              ;   in Loop: Header=BB51_13 Depth=1
	s_or_b32 exec_lo, exec_lo, s8
	s_and_saveexec_b32 s8, s25
	s_cbranch_execz .LBB51_20
; %bb.19:                               ;   in Loop: Header=BB51_13 Depth=1
	v_mad_u32 v10, s5, s26, v16
	global_load_u16 v10, v10, s[18:19] scale_offset
	s_wait_loadcnt 0x0
	v_cvt_f32_f16_e32 v10, v10
	ds_store_b32 v20, v10
.LBB51_20:                              ;   in Loop: Header=BB51_13 Depth=1
	s_or_b32 exec_lo, exec_lo, s8
	s_wait_dscnt 0x0
	s_barrier_signal -1
	s_barrier_wait -1
	s_and_saveexec_b32 s8, vcc_lo
	s_cbranch_execz .LBB51_12
; %bb.21:                               ;   in Loop: Header=BB51_13 Depth=1
	s_and_saveexec_b32 s9, s2
	s_cbranch_execz .LBB51_24
; %bb.22:                               ;   in Loop: Header=BB51_13 Depth=1
	v_dual_mov_b32 v10, v17 :: v_dual_mov_b32 v11, v15
	s_mov_b32 s27, s10
.LBB51_23:                              ;   Parent Loop BB51_13 Depth=1
                                        ; =>  This Inner Loop Header: Depth=2
	ds_load_b32 v12, v10
	ds_load_b32 v13, v11
	v_dual_add_nc_u32 v11, 4, v11 :: v_dual_add_nc_u32 v10, 4, v10
	s_add_co_i32 s27, s27, -1
	s_delay_alu instid0(SALU_CYCLE_1)
	s_cmp_lg_u32 s27, 0
	s_wait_dscnt 0x0
	v_fma_f32 v2, v12, v13, v2
	s_cbranch_scc1 .LBB51_23
.LBB51_24:                              ;   in Loop: Header=BB51_13 Depth=1
	s_or_b32 exec_lo, exec_lo, s9
	s_and_saveexec_b32 s9, s3
	s_cbranch_execz .LBB51_11
; %bb.25:                               ;   in Loop: Header=BB51_13 Depth=1
	v_dual_mov_b32 v10, v17 :: v_dual_mov_b32 v11, v18
	s_mov_b32 s27, s10
.LBB51_26:                              ;   Parent Loop BB51_13 Depth=1
                                        ; =>  This Inner Loop Header: Depth=2
	ds_load_b32 v12, v10
	ds_load_b32 v13, v11
	v_dual_add_nc_u32 v11, 4, v11 :: v_dual_add_nc_u32 v10, 4, v10
	s_add_co_i32 s27, s27, -1
	s_delay_alu instid0(SALU_CYCLE_1)
	s_cmp_lg_u32 s27, 0
	s_wait_dscnt 0x0
	v_fma_f32 v3, v12, v13, v3
	s_cbranch_scc1 .LBB51_26
	s_branch .LBB51_11
.LBB51_27:
	v_mov_b64_e32 v[2:3], 0
.LBB51_28:
	s_load_b64 s[4:5], s[0:1], 0x68
	s_and_b32 s2, s7, vcc_lo
	s_delay_alu instid0(SALU_CYCLE_1)
	s_and_saveexec_b32 s3, s2
	s_cbranch_execz .LBB51_48
; %bb.29:
	s_load_b64 s[2:3], s[0:1], 0x70
	v_mad_u32 v6, s10, s22, v14
	s_cmp_neq_f32 s24, 0
	s_wait_xcnt 0x0
	s_mov_b32 s0, exec_lo
	s_cselect_b32 s7, -1, 0
	s_cmp_lg_u32 s20, 1
	s_cselect_b32 s1, -1, 0
	s_delay_alu instid0(VALU_DEP_1) | instskip(SKIP_1) | instid1(VALU_DEP_1)
	v_ashrrev_i32_e32 v7, 31, v6
	s_wait_kmcnt 0x0
	v_mul_u64_e32 v[8:9], s[2:3], v[6:7]
	v_lshl_add_u64 v[6:7], v[6:7], 2, s[4:5]
	s_delay_alu instid0(VALU_DEP_2)
	v_lshl_add_u64 v[8:9], v[8:9], 2, s[4:5]
	v_cmpx_gt_i32_e64 s11, v4
	s_cbranch_execz .LBB51_41
; %bb.30:
	v_ashrrev_i32_e32 v5, 31, v4
	s_and_b32 vcc_lo, exec_lo, s7
	s_cbranch_vccz .LBB51_36
; %bb.31:
	s_and_b32 vcc_lo, exec_lo, s1
	s_mov_b32 s4, -1
	s_cbranch_vccz .LBB51_33
; %bb.32:
	v_lshl_add_u64 v[10:11], v[4:5], 2, v[8:9]
	v_mul_f32_e32 v12, s6, v2
	s_mov_b32 s4, 0
	global_load_b32 v1, v[10:11], off
	s_wait_loadcnt 0x0
	v_fmac_f32_e32 v12, s24, v1
	global_store_b32 v[10:11], v12, off
.LBB51_33:
	s_and_not1_b32 vcc_lo, exec_lo, s4
	s_cbranch_vccnz .LBB51_35
; %bb.34:
	s_wait_xcnt 0x0
	v_mul_u64_e32 v[10:11], s[2:3], v[4:5]
	v_mul_f32_e32 v12, s6, v2
	s_delay_alu instid0(VALU_DEP_2)
	v_lshl_add_u64 v[10:11], v[10:11], 2, v[6:7]
	global_load_b32 v1, v[10:11], off
	s_wait_loadcnt 0x0
	v_fmac_f32_e32 v12, s24, v1
	global_store_b32 v[10:11], v12, off
.LBB51_35:
	s_cbranch_execz .LBB51_37
	s_branch .LBB51_41
.LBB51_36:
.LBB51_37:
	v_mul_f32_e32 v1, s6, v2
	s_and_b32 vcc_lo, exec_lo, s1
	s_mov_b32 s4, -1
	s_cbranch_vccz .LBB51_39
; %bb.38:
	s_wait_xcnt 0x0
	v_lshl_add_u64 v[10:11], v[4:5], 2, v[8:9]
	s_mov_b32 s4, 0
	global_store_b32 v[10:11], v1, off
.LBB51_39:
	s_and_not1_b32 vcc_lo, exec_lo, s4
	s_cbranch_vccnz .LBB51_41
; %bb.40:
	v_mul_u64_e32 v[4:5], s[2:3], v[4:5]
	s_delay_alu instid0(VALU_DEP_1)
	v_lshl_add_u64 v[4:5], v[4:5], 2, v[6:7]
	global_store_b32 v[4:5], v1, off
.LBB51_41:
	s_wait_xcnt 0x0
	s_or_b32 exec_lo, exec_lo, s0
	v_cmp_gt_i32_e32 vcc_lo, s11, v0
	s_and_b32 exec_lo, exec_lo, vcc_lo
	s_cbranch_execz .LBB51_48
; %bb.42:
	v_cndmask_b32_e64 v2, 0, 1, s1
	v_ashrrev_i32_e32 v1, 31, v0
	s_and_not1_b32 vcc_lo, exec_lo, s7
	s_delay_alu instid0(VALU_DEP_2)
	v_cmp_ne_u32_e64 s0, 1, v2
	s_cbranch_vccnz .LBB51_49
; %bb.43:
	s_and_b32 vcc_lo, exec_lo, s0
	s_mov_b32 s0, -1
	s_cbranch_vccnz .LBB51_45
; %bb.44:
	v_lshl_add_u64 v[4:5], v[0:1], 2, v[8:9]
	v_mul_f32_e32 v10, s6, v3
	s_mov_b32 s0, 0
	global_load_b32 v2, v[4:5], off
	s_wait_loadcnt 0x0
	v_fmac_f32_e32 v10, s24, v2
	global_store_b32 v[4:5], v10, off
.LBB51_45:
	s_and_not1_b32 vcc_lo, exec_lo, s0
	s_cbranch_vccnz .LBB51_47
; %bb.46:
	s_wait_xcnt 0x0
	v_mul_u64_e32 v[4:5], s[2:3], v[0:1]
	v_mul_f32_e32 v10, s6, v3
	s_delay_alu instid0(VALU_DEP_2)
	v_lshl_add_u64 v[4:5], v[4:5], 2, v[6:7]
	global_load_b32 v2, v[4:5], off
	s_wait_loadcnt 0x0
	v_fmac_f32_e32 v10, s24, v2
	global_store_b32 v[4:5], v10, off
.LBB51_47:
	s_cbranch_execz .LBB51_50
.LBB51_48:
	s_endpgm
.LBB51_49:
.LBB51_50:
	v_mul_f32_e32 v2, s6, v3
	s_and_not1_b32 vcc_lo, exec_lo, s1
	s_mov_b32 s0, -1
	s_cbranch_vccnz .LBB51_52
; %bb.51:
	s_wait_xcnt 0x0
	v_lshl_add_u64 v[4:5], v[0:1], 2, v[8:9]
	s_mov_b32 s0, 0
	global_store_b32 v[4:5], v2, off
.LBB51_52:
	s_and_not1_b32 vcc_lo, exec_lo, s0
	s_cbranch_vccnz .LBB51_48
; %bb.53:
	v_mul_u64_e32 v[0:1], s[2:3], v[0:1]
	s_delay_alu instid0(VALU_DEP_1)
	v_lshl_add_u64 v[0:1], v[0:1], 2, v[6:7]
	global_store_b32 v[0:1], v2, off
	s_endpgm
	.section	.rodata,"a",@progbits
	.p2align	6, 0x0
	.amdhsa_kernel _ZN9rocsparseL31bsrmm_large_blockdim_kernel_extILj32ELj32ELj2EiiDF16_DF16_ffEEvb20rocsparse_direction_T3_S2_llNS_24const_host_device_scalarIT7_EEPKT2_PKS2_PKT4_S2_PKT5_llS5_PT6_ll16rocsparse_order_21rocsparse_index_base_b
		.amdhsa_group_segment_fixed_size 12288
		.amdhsa_private_segment_fixed_size 0
		.amdhsa_kernarg_size 140
		.amdhsa_user_sgpr_count 2
		.amdhsa_user_sgpr_dispatch_ptr 0
		.amdhsa_user_sgpr_queue_ptr 0
		.amdhsa_user_sgpr_kernarg_segment_ptr 1
		.amdhsa_user_sgpr_dispatch_id 0
		.amdhsa_user_sgpr_kernarg_preload_length 0
		.amdhsa_user_sgpr_kernarg_preload_offset 0
		.amdhsa_user_sgpr_private_segment_size 0
		.amdhsa_wavefront_size32 1
		.amdhsa_uses_dynamic_stack 0
		.amdhsa_enable_private_segment 0
		.amdhsa_system_sgpr_workgroup_id_x 1
		.amdhsa_system_sgpr_workgroup_id_y 1
		.amdhsa_system_sgpr_workgroup_id_z 0
		.amdhsa_system_sgpr_workgroup_info 0
		.amdhsa_system_vgpr_workitem_id 1
		.amdhsa_next_free_vgpr 26
		.amdhsa_next_free_sgpr 30
		.amdhsa_named_barrier_count 0
		.amdhsa_reserve_vcc 1
		.amdhsa_float_round_mode_32 0
		.amdhsa_float_round_mode_16_64 0
		.amdhsa_float_denorm_mode_32 3
		.amdhsa_float_denorm_mode_16_64 3
		.amdhsa_fp16_overflow 0
		.amdhsa_memory_ordered 1
		.amdhsa_forward_progress 1
		.amdhsa_inst_pref_size 13
		.amdhsa_round_robin_scheduling 0
		.amdhsa_exception_fp_ieee_invalid_op 0
		.amdhsa_exception_fp_denorm_src 0
		.amdhsa_exception_fp_ieee_div_zero 0
		.amdhsa_exception_fp_ieee_overflow 0
		.amdhsa_exception_fp_ieee_underflow 0
		.amdhsa_exception_fp_ieee_inexact 0
		.amdhsa_exception_int_div_zero 0
	.end_amdhsa_kernel
	.section	.text._ZN9rocsparseL31bsrmm_large_blockdim_kernel_extILj32ELj32ELj2EiiDF16_DF16_ffEEvb20rocsparse_direction_T3_S2_llNS_24const_host_device_scalarIT7_EEPKT2_PKS2_PKT4_S2_PKT5_llS5_PT6_ll16rocsparse_order_21rocsparse_index_base_b,"axG",@progbits,_ZN9rocsparseL31bsrmm_large_blockdim_kernel_extILj32ELj32ELj2EiiDF16_DF16_ffEEvb20rocsparse_direction_T3_S2_llNS_24const_host_device_scalarIT7_EEPKT2_PKS2_PKT4_S2_PKT5_llS5_PT6_ll16rocsparse_order_21rocsparse_index_base_b,comdat
.Lfunc_end51:
	.size	_ZN9rocsparseL31bsrmm_large_blockdim_kernel_extILj32ELj32ELj2EiiDF16_DF16_ffEEvb20rocsparse_direction_T3_S2_llNS_24const_host_device_scalarIT7_EEPKT2_PKS2_PKT4_S2_PKT5_llS5_PT6_ll16rocsparse_order_21rocsparse_index_base_b, .Lfunc_end51-_ZN9rocsparseL31bsrmm_large_blockdim_kernel_extILj32ELj32ELj2EiiDF16_DF16_ffEEvb20rocsparse_direction_T3_S2_llNS_24const_host_device_scalarIT7_EEPKT2_PKS2_PKT4_S2_PKT5_llS5_PT6_ll16rocsparse_order_21rocsparse_index_base_b
                                        ; -- End function
	.set _ZN9rocsparseL31bsrmm_large_blockdim_kernel_extILj32ELj32ELj2EiiDF16_DF16_ffEEvb20rocsparse_direction_T3_S2_llNS_24const_host_device_scalarIT7_EEPKT2_PKS2_PKT4_S2_PKT5_llS5_PT6_ll16rocsparse_order_21rocsparse_index_base_b.num_vgpr, 26
	.set _ZN9rocsparseL31bsrmm_large_blockdim_kernel_extILj32ELj32ELj2EiiDF16_DF16_ffEEvb20rocsparse_direction_T3_S2_llNS_24const_host_device_scalarIT7_EEPKT2_PKS2_PKT4_S2_PKT5_llS5_PT6_ll16rocsparse_order_21rocsparse_index_base_b.num_agpr, 0
	.set _ZN9rocsparseL31bsrmm_large_blockdim_kernel_extILj32ELj32ELj2EiiDF16_DF16_ffEEvb20rocsparse_direction_T3_S2_llNS_24const_host_device_scalarIT7_EEPKT2_PKS2_PKT4_S2_PKT5_llS5_PT6_ll16rocsparse_order_21rocsparse_index_base_b.numbered_sgpr, 30
	.set _ZN9rocsparseL31bsrmm_large_blockdim_kernel_extILj32ELj32ELj2EiiDF16_DF16_ffEEvb20rocsparse_direction_T3_S2_llNS_24const_host_device_scalarIT7_EEPKT2_PKS2_PKT4_S2_PKT5_llS5_PT6_ll16rocsparse_order_21rocsparse_index_base_b.num_named_barrier, 0
	.set _ZN9rocsparseL31bsrmm_large_blockdim_kernel_extILj32ELj32ELj2EiiDF16_DF16_ffEEvb20rocsparse_direction_T3_S2_llNS_24const_host_device_scalarIT7_EEPKT2_PKS2_PKT4_S2_PKT5_llS5_PT6_ll16rocsparse_order_21rocsparse_index_base_b.private_seg_size, 0
	.set _ZN9rocsparseL31bsrmm_large_blockdim_kernel_extILj32ELj32ELj2EiiDF16_DF16_ffEEvb20rocsparse_direction_T3_S2_llNS_24const_host_device_scalarIT7_EEPKT2_PKS2_PKT4_S2_PKT5_llS5_PT6_ll16rocsparse_order_21rocsparse_index_base_b.uses_vcc, 1
	.set _ZN9rocsparseL31bsrmm_large_blockdim_kernel_extILj32ELj32ELj2EiiDF16_DF16_ffEEvb20rocsparse_direction_T3_S2_llNS_24const_host_device_scalarIT7_EEPKT2_PKS2_PKT4_S2_PKT5_llS5_PT6_ll16rocsparse_order_21rocsparse_index_base_b.uses_flat_scratch, 0
	.set _ZN9rocsparseL31bsrmm_large_blockdim_kernel_extILj32ELj32ELj2EiiDF16_DF16_ffEEvb20rocsparse_direction_T3_S2_llNS_24const_host_device_scalarIT7_EEPKT2_PKS2_PKT4_S2_PKT5_llS5_PT6_ll16rocsparse_order_21rocsparse_index_base_b.has_dyn_sized_stack, 0
	.set _ZN9rocsparseL31bsrmm_large_blockdim_kernel_extILj32ELj32ELj2EiiDF16_DF16_ffEEvb20rocsparse_direction_T3_S2_llNS_24const_host_device_scalarIT7_EEPKT2_PKS2_PKT4_S2_PKT5_llS5_PT6_ll16rocsparse_order_21rocsparse_index_base_b.has_recursion, 0
	.set _ZN9rocsparseL31bsrmm_large_blockdim_kernel_extILj32ELj32ELj2EiiDF16_DF16_ffEEvb20rocsparse_direction_T3_S2_llNS_24const_host_device_scalarIT7_EEPKT2_PKS2_PKT4_S2_PKT5_llS5_PT6_ll16rocsparse_order_21rocsparse_index_base_b.has_indirect_call, 0
	.section	.AMDGPU.csdata,"",@progbits
; Kernel info:
; codeLenInByte = 1640
; TotalNumSgprs: 32
; NumVgprs: 26
; ScratchSize: 0
; MemoryBound: 0
; FloatMode: 240
; IeeeMode: 1
; LDSByteSize: 12288 bytes/workgroup (compile time only)
; SGPRBlocks: 0
; VGPRBlocks: 1
; NumSGPRsForWavesPerEU: 32
; NumVGPRsForWavesPerEU: 26
; NamedBarCnt: 0
; Occupancy: 16
; WaveLimiterHint : 1
; COMPUTE_PGM_RSRC2:SCRATCH_EN: 0
; COMPUTE_PGM_RSRC2:USER_SGPR: 2
; COMPUTE_PGM_RSRC2:TRAP_HANDLER: 0
; COMPUTE_PGM_RSRC2:TGID_X_EN: 1
; COMPUTE_PGM_RSRC2:TGID_Y_EN: 1
; COMPUTE_PGM_RSRC2:TGID_Z_EN: 0
; COMPUTE_PGM_RSRC2:TIDIG_COMP_CNT: 1
	.section	.text._ZN9rocsparseL31bsrmm_large_blockdim_kernel_extILj8ELj8ELj2EliDF16_DF16_ffEEvb20rocsparse_direction_T3_S2_llNS_24const_host_device_scalarIT7_EEPKT2_PKS2_PKT4_S2_PKT5_llS5_PT6_ll16rocsparse_order_21rocsparse_index_base_b,"axG",@progbits,_ZN9rocsparseL31bsrmm_large_blockdim_kernel_extILj8ELj8ELj2EliDF16_DF16_ffEEvb20rocsparse_direction_T3_S2_llNS_24const_host_device_scalarIT7_EEPKT2_PKS2_PKT4_S2_PKT5_llS5_PT6_ll16rocsparse_order_21rocsparse_index_base_b,comdat
	.globl	_ZN9rocsparseL31bsrmm_large_blockdim_kernel_extILj8ELj8ELj2EliDF16_DF16_ffEEvb20rocsparse_direction_T3_S2_llNS_24const_host_device_scalarIT7_EEPKT2_PKS2_PKT4_S2_PKT5_llS5_PT6_ll16rocsparse_order_21rocsparse_index_base_b ; -- Begin function _ZN9rocsparseL31bsrmm_large_blockdim_kernel_extILj8ELj8ELj2EliDF16_DF16_ffEEvb20rocsparse_direction_T3_S2_llNS_24const_host_device_scalarIT7_EEPKT2_PKS2_PKT4_S2_PKT5_llS5_PT6_ll16rocsparse_order_21rocsparse_index_base_b
	.p2align	8
	.type	_ZN9rocsparseL31bsrmm_large_blockdim_kernel_extILj8ELj8ELj2EliDF16_DF16_ffEEvb20rocsparse_direction_T3_S2_llNS_24const_host_device_scalarIT7_EEPKT2_PKS2_PKT4_S2_PKT5_llS5_PT6_ll16rocsparse_order_21rocsparse_index_base_b,@function
_ZN9rocsparseL31bsrmm_large_blockdim_kernel_extILj8ELj8ELj2EliDF16_DF16_ffEEvb20rocsparse_direction_T3_S2_llNS_24const_host_device_scalarIT7_EEPKT2_PKS2_PKT4_S2_PKT5_llS5_PT6_ll16rocsparse_order_21rocsparse_index_base_b: ; @_ZN9rocsparseL31bsrmm_large_blockdim_kernel_extILj8ELj8ELj2EliDF16_DF16_ffEEvb20rocsparse_direction_T3_S2_llNS_24const_host_device_scalarIT7_EEPKT2_PKS2_PKT4_S2_PKT5_llS5_PT6_ll16rocsparse_order_21rocsparse_index_base_b
; %bb.0:
	s_clause 0x2
	s_load_b96 s[20:22], s[0:1], 0x80
	s_load_b64 s[6:7], s[0:1], 0x20
	s_load_b64 s[24:25], s[0:1], 0x60
	s_wait_kmcnt 0x0
	s_bitcmp1_b32 s22, 0
	s_cselect_b32 s2, -1, 0
	s_delay_alu instid0(SALU_CYCLE_1)
	s_and_b32 vcc_lo, exec_lo, s2
	s_xor_b32 s2, s2, -1
	s_cbranch_vccnz .LBB52_2
; %bb.1:
	s_load_b32 s6, s[6:7], 0x0
.LBB52_2:
	s_and_not1_b32 vcc_lo, exec_lo, s2
	s_cbranch_vccnz .LBB52_4
; %bb.3:
	s_load_b32 s24, s[24:25], 0x0
.LBB52_4:
	s_wait_kmcnt 0x0
	s_cmp_eq_f32 s6, 0
	s_cselect_b32 s2, -1, 0
	s_cmp_eq_f32 s24, 1.0
	s_cselect_b32 s3, -1, 0
	s_delay_alu instid0(SALU_CYCLE_1) | instskip(NEXT) | instid1(SALU_CYCLE_1)
	s_and_b32 s2, s2, s3
	s_and_b32 vcc_lo, exec_lo, s2
	s_cbranch_vccnz .LBB52_48
; %bb.5:
	s_clause 0x1
	s_load_b128 s[8:11], s[0:1], 0x0
	s_load_b64 s[2:3], s[0:1], 0x28
	s_bfe_u32 s4, ttmp6, 0x4000c
	s_and_b32 s5, ttmp6, 15
	s_add_co_i32 s4, s4, 1
	s_mov_b64 s[26:27], 0
	s_mul_i32 s7, ttmp9, s4
	s_getreg_b32 s4, hwreg(HW_REG_IB_STS2, 6, 4)
	s_add_co_i32 s5, s5, s7
	s_cmp_eq_u32 s4, 0
	s_mov_b64 s[28:29], 0
	s_cselect_b32 s22, ttmp9, s5
	s_wait_kmcnt 0x0
	s_cmp_lt_i32 s22, s10
	s_cselect_b32 s7, -1, 0
	s_cmp_ge_i32 s22, s10
	s_cbranch_scc1 .LBB52_7
; %bb.6:
	s_ashr_i32 s23, s22, 31
	s_mov_b32 s15, 0
	s_lshl_b64 s[12:13], s[22:23], 3
	s_mov_b32 s14, s21
	s_add_nc_u64 s[12:13], s[2:3], s[12:13]
	s_load_b64 s[12:13], s[12:13], 0x0
	s_wait_kmcnt 0x0
	s_sub_nc_u64 s[28:29], s[12:13], s[14:15]
.LBB52_7:
	s_and_not1_b32 vcc_lo, exec_lo, s7
	s_cbranch_vccnz .LBB52_9
; %bb.8:
	s_ashr_i32 s23, s22, 31
	s_delay_alu instid0(SALU_CYCLE_1) | instskip(NEXT) | instid1(SALU_CYCLE_1)
	s_lshl_b64 s[12:13], s[22:23], 3
	s_add_nc_u64 s[2:3], s[2:3], s[12:13]
	s_mov_b32 s13, 0
	s_load_b64 s[2:3], s[2:3], 0x8
	s_mov_b32 s12, s21
	s_wait_kmcnt 0x0
	s_sub_nc_u64 s[26:27], s[2:3], s[12:13]
.LBB52_9:
	s_bfe_u32 s2, ttmp6, 0x40010
	s_load_b32 s10, s[0:1], 0x40
	s_add_co_i32 s2, s2, 1
	s_bfe_u32 s3, ttmp6, 0x40004
	s_mul_i32 s2, ttmp7, s2
	v_bfe_u32 v2, v0, 10, 10
	s_add_co_i32 s3, s3, s2
	s_cmp_eq_u32 s4, 0
	v_and_b32_e32 v16, 0x3ff, v0
	s_cselect_b32 s2, ttmp7, s3
	s_mov_b32 s31, 0
	v_lshl_add_u32 v4, s2, 4, v2
	v_cmp_ge_i64_e64 s2, s[28:29], s[26:27]
	s_delay_alu instid0(VALU_DEP_2)
	v_add_nc_u32_e32 v0, 8, v4
	v_cmp_gt_i32_e64 s3, s11, v4
	s_and_b32 vcc_lo, exec_lo, s2
	s_wait_kmcnt 0x0
	v_cmp_gt_i32_e64 s2, s10, v16
	v_cmp_gt_i32_e64 s4, s11, v0
	s_cbranch_vccnz .LBB52_27
; %bb.10:
	s_clause 0x1
	s_load_b128 s[12:15], s[0:1], 0x30
	s_load_b128 s[16:19], s[0:1], 0x48
	v_mul_lo_u32 v10, s10, v2
	v_dual_mov_b32 v11, 0 :: v_dual_ashrrev_i32 v5, 31, v4
	v_ashrrev_i32_e32 v1, 31, v0
	v_cmp_gt_i32_e32 vcc_lo, s10, v2
	v_lshl_add_u32 v21, v2, 2, 0x200
	v_dual_lshlrev_b32 v22, 5, v16 :: v_dual_lshlrev_b32 v17, 5, v2
	s_mul_i32 s30, s10, s10
	s_delay_alu instid0(VALU_DEP_1) | instskip(NEXT) | instid1(VALU_DEP_1)
	v_dual_lshlrev_b32 v20, 2, v16 :: v_dual_add_nc_u32 v21, v21, v22
	v_add_nc_u32_e32 v20, v20, v17
	s_wait_kmcnt 0x0
	v_lshl_add_u64 v[12:13], v[10:11], 1, s[14:15]
	v_lshlrev_b32_e32 v10, 1, v16
	v_mul_u64_e32 v[6:7], s[18:19], v[4:5]
	s_delay_alu instid0(VALU_DEP_2) | instskip(SKIP_1) | instid1(VALU_DEP_1)
	v_add_nc_u64_e32 v[12:13], v[12:13], v[10:11]
	v_mul_lo_u32 v10, s10, v16
	v_lshl_add_u64 v[14:15], v[10:11], 1, s[14:15]
	v_lshlrev_b32_e32 v10, 1, v2
	v_mul_u64_e32 v[8:9], s[18:19], v[0:1]
	s_and_b32 s14, s2, vcc_lo
	s_bitcmp1_b32 s8, 0
	v_mov_b64_e32 v[2:3], 0
	v_add_nc_u64_e32 v[10:11], v[14:15], v[10:11]
	s_cselect_b32 s5, -1, 0
	s_cmp_eq_u32 s9, 0
	s_cselect_b32 vcc_lo, -1, 0
	v_add_nc_u32_e32 v18, 0x200, v22
	s_delay_alu instid0(VALU_DEP_2) | instskip(NEXT) | instid1(VALU_DEP_3)
	v_dual_cndmask_b32 v10, v12, v10 :: v_dual_add_nc_u32 v19, 0x100, v17
	v_cndmask_b32_e32 v11, v13, v11, vcc_lo
	s_branch .LBB52_13
.LBB52_11:                              ;   in Loop: Header=BB52_13 Depth=1
	s_or_b32 exec_lo, exec_lo, s9
.LBB52_12:                              ;   in Loop: Header=BB52_13 Depth=1
	s_delay_alu instid0(SALU_CYCLE_1) | instskip(SKIP_1) | instid1(SALU_CYCLE_1)
	s_or_b32 exec_lo, exec_lo, s8
	s_add_nc_u64 s[28:29], s[28:29], 1
	v_cmp_ge_i64_e64 s8, s[28:29], s[26:27]
	s_barrier_signal -1
	s_barrier_wait -1
	s_and_b32 vcc_lo, exec_lo, s8
	s_cbranch_vccnz .LBB52_28
.LBB52_13:                              ; =>This Loop Header: Depth=1
                                        ;     Child Loop BB52_23 Depth 2
                                        ;     Child Loop BB52_26 Depth 2
	s_and_saveexec_b32 s8, s2
	s_cbranch_execz .LBB52_18
; %bb.14:                               ;   in Loop: Header=BB52_13 Depth=1
	s_lshl_b64 s[34:35], s[28:29], 2
	s_delay_alu instid0(SALU_CYCLE_1) | instskip(SKIP_3) | instid1(SALU_CYCLE_1)
	s_add_nc_u64 s[34:35], s[12:13], s[34:35]
	s_load_b32 s9, s[34:35], 0x0
	s_wait_kmcnt 0x0
	s_sub_co_i32 s9, s9, s21
	v_mad_u32 v14, s9, s10, v16
	s_delay_alu instid0(VALU_DEP_1) | instskip(NEXT) | instid1(VALU_DEP_1)
	v_ashrrev_i32_e32 v15, 31, v14
	v_mul_u64_e32 v[12:13], s[18:19], v[14:15]
	v_lshl_add_u64 v[14:15], v[14:15], 1, s[16:17]
	s_delay_alu instid0(VALU_DEP_2)
	v_lshl_add_u64 v[12:13], v[12:13], 1, s[16:17]
	s_and_saveexec_b32 s9, s3
	s_cbranch_execz .LBB52_16
; %bb.15:                               ;   in Loop: Header=BB52_13 Depth=1
	s_delay_alu instid0(VALU_DEP_1) | instskip(SKIP_1) | instid1(VALU_DEP_1)
	v_lshl_add_u64 v[22:23], v[4:5], 1, v[12:13]
	v_lshl_add_u64 v[24:25], v[6:7], 1, v[14:15]
	v_dual_cndmask_b32 v23, v23, v25, s5 :: v_dual_cndmask_b32 v22, v22, v24, s5
	global_load_u16 v22, v[22:23], off
	s_wait_loadcnt 0x0
	v_cvt_f32_f16_e32 v22, v22
	ds_store_b32 v20, v22
.LBB52_16:                              ;   in Loop: Header=BB52_13 Depth=1
	s_or_b32 exec_lo, exec_lo, s9
	s_delay_alu instid0(SALU_CYCLE_1)
	s_and_b32 exec_lo, exec_lo, s4
	s_cbranch_execz .LBB52_18
; %bb.17:                               ;   in Loop: Header=BB52_13 Depth=1
	v_lshl_add_u64 v[14:15], v[8:9], 1, v[14:15]
	v_lshl_add_u64 v[12:13], v[0:1], 1, v[12:13]
	s_delay_alu instid0(VALU_DEP_1)
	v_dual_cndmask_b32 v13, v13, v15, s5 :: v_dual_cndmask_b32 v12, v12, v14, s5
	global_load_u16 v12, v[12:13], off
	s_wait_loadcnt 0x0
	v_cvt_f32_f16_e32 v12, v12
	ds_store_b32 v20, v12 offset:256
.LBB52_18:                              ;   in Loop: Header=BB52_13 Depth=1
	s_or_b32 exec_lo, exec_lo, s8
	s_and_saveexec_b32 s8, s14
	s_cbranch_execz .LBB52_20
; %bb.19:                               ;   in Loop: Header=BB52_13 Depth=1
	s_mul_u64 s[34:35], s[28:29], s[30:31]
	s_delay_alu instid0(SALU_CYCLE_1)
	v_lshl_add_u64 v[12:13], s[34:35], 1, v[10:11]
	global_load_u16 v12, v[12:13], off
	s_wait_loadcnt 0x0
	v_cvt_f32_f16_e32 v12, v12
	ds_store_b32 v21, v12
.LBB52_20:                              ;   in Loop: Header=BB52_13 Depth=1
	s_or_b32 exec_lo, exec_lo, s8
	s_wait_dscnt 0x0
	s_barrier_signal -1
	s_barrier_wait -1
	s_and_saveexec_b32 s8, s2
	s_cbranch_execz .LBB52_12
; %bb.21:                               ;   in Loop: Header=BB52_13 Depth=1
	s_and_saveexec_b32 s9, s3
	s_cbranch_execz .LBB52_24
; %bb.22:                               ;   in Loop: Header=BB52_13 Depth=1
	v_dual_mov_b32 v12, v18 :: v_dual_mov_b32 v13, v17
	s_mov_b32 s15, s10
.LBB52_23:                              ;   Parent Loop BB52_13 Depth=1
                                        ; =>  This Inner Loop Header: Depth=2
	ds_load_b32 v14, v12
	ds_load_b32 v15, v13
	v_dual_add_nc_u32 v13, 4, v13 :: v_dual_add_nc_u32 v12, 4, v12
	s_add_co_i32 s15, s15, -1
	s_delay_alu instid0(SALU_CYCLE_1)
	s_cmp_lg_u32 s15, 0
	s_wait_dscnt 0x0
	v_fma_f32 v2, v14, v15, v2
	s_cbranch_scc1 .LBB52_23
.LBB52_24:                              ;   in Loop: Header=BB52_13 Depth=1
	s_or_b32 exec_lo, exec_lo, s9
	s_and_saveexec_b32 s9, s4
	s_cbranch_execz .LBB52_11
; %bb.25:                               ;   in Loop: Header=BB52_13 Depth=1
	v_dual_mov_b32 v12, v18 :: v_dual_mov_b32 v13, v19
	s_mov_b32 s15, s10
.LBB52_26:                              ;   Parent Loop BB52_13 Depth=1
                                        ; =>  This Inner Loop Header: Depth=2
	ds_load_b32 v14, v12
	ds_load_b32 v15, v13
	v_dual_add_nc_u32 v13, 4, v13 :: v_dual_add_nc_u32 v12, 4, v12
	s_add_co_i32 s15, s15, -1
	s_delay_alu instid0(SALU_CYCLE_1)
	s_cmp_lg_u32 s15, 0
	s_wait_dscnt 0x0
	v_fma_f32 v3, v14, v15, v3
	s_cbranch_scc1 .LBB52_26
	s_branch .LBB52_11
.LBB52_27:
	v_mov_b64_e32 v[2:3], 0
.LBB52_28:
	s_load_b64 s[4:5], s[0:1], 0x68
	s_and_b32 s2, s7, s2
	s_delay_alu instid0(SALU_CYCLE_1)
	s_and_saveexec_b32 s3, s2
	s_cbranch_execz .LBB52_48
; %bb.29:
	s_load_b64 s[2:3], s[0:1], 0x70
	v_mad_u32 v6, s10, s22, v16
	s_cmp_neq_f32 s24, 0
	s_wait_xcnt 0x0
	s_mov_b32 s0, exec_lo
	s_cselect_b32 s7, -1, 0
	s_cmp_lg_u32 s20, 1
	s_cselect_b32 s1, -1, 0
	s_delay_alu instid0(VALU_DEP_1) | instskip(SKIP_1) | instid1(VALU_DEP_1)
	v_ashrrev_i32_e32 v7, 31, v6
	s_wait_kmcnt 0x0
	v_mul_u64_e32 v[8:9], s[2:3], v[6:7]
	v_lshl_add_u64 v[6:7], v[6:7], 2, s[4:5]
	s_delay_alu instid0(VALU_DEP_2)
	v_lshl_add_u64 v[8:9], v[8:9], 2, s[4:5]
	v_cmpx_gt_i32_e64 s11, v4
	s_cbranch_execz .LBB52_41
; %bb.30:
	v_ashrrev_i32_e32 v5, 31, v4
	s_and_b32 vcc_lo, exec_lo, s7
	s_cbranch_vccz .LBB52_36
; %bb.31:
	s_and_b32 vcc_lo, exec_lo, s1
	s_mov_b32 s4, -1
	s_cbranch_vccz .LBB52_33
; %bb.32:
	v_lshl_add_u64 v[10:11], v[4:5], 2, v[8:9]
	v_mul_f32_e32 v12, s6, v2
	s_mov_b32 s4, 0
	global_load_b32 v1, v[10:11], off
	s_wait_loadcnt 0x0
	v_fmac_f32_e32 v12, s24, v1
	global_store_b32 v[10:11], v12, off
.LBB52_33:
	s_and_not1_b32 vcc_lo, exec_lo, s4
	s_cbranch_vccnz .LBB52_35
; %bb.34:
	s_wait_xcnt 0x0
	v_mul_u64_e32 v[10:11], s[2:3], v[4:5]
	v_mul_f32_e32 v12, s6, v2
	s_delay_alu instid0(VALU_DEP_2)
	v_lshl_add_u64 v[10:11], v[10:11], 2, v[6:7]
	global_load_b32 v1, v[10:11], off
	s_wait_loadcnt 0x0
	v_fmac_f32_e32 v12, s24, v1
	global_store_b32 v[10:11], v12, off
.LBB52_35:
	s_cbranch_execz .LBB52_37
	s_branch .LBB52_41
.LBB52_36:
.LBB52_37:
	v_mul_f32_e32 v1, s6, v2
	s_and_b32 vcc_lo, exec_lo, s1
	s_mov_b32 s4, -1
	s_cbranch_vccz .LBB52_39
; %bb.38:
	s_wait_xcnt 0x0
	v_lshl_add_u64 v[10:11], v[4:5], 2, v[8:9]
	s_mov_b32 s4, 0
	global_store_b32 v[10:11], v1, off
.LBB52_39:
	s_and_not1_b32 vcc_lo, exec_lo, s4
	s_cbranch_vccnz .LBB52_41
; %bb.40:
	v_mul_u64_e32 v[4:5], s[2:3], v[4:5]
	s_delay_alu instid0(VALU_DEP_1)
	v_lshl_add_u64 v[4:5], v[4:5], 2, v[6:7]
	global_store_b32 v[4:5], v1, off
.LBB52_41:
	s_wait_xcnt 0x0
	s_or_b32 exec_lo, exec_lo, s0
	v_cmp_gt_i32_e32 vcc_lo, s11, v0
	s_and_b32 exec_lo, exec_lo, vcc_lo
	s_cbranch_execz .LBB52_48
; %bb.42:
	v_cndmask_b32_e64 v2, 0, 1, s1
	v_ashrrev_i32_e32 v1, 31, v0
	s_and_not1_b32 vcc_lo, exec_lo, s7
	s_delay_alu instid0(VALU_DEP_2)
	v_cmp_ne_u32_e64 s0, 1, v2
	s_cbranch_vccnz .LBB52_49
; %bb.43:
	s_and_b32 vcc_lo, exec_lo, s0
	s_mov_b32 s0, -1
	s_cbranch_vccnz .LBB52_45
; %bb.44:
	v_lshl_add_u64 v[4:5], v[0:1], 2, v[8:9]
	v_mul_f32_e32 v10, s6, v3
	s_mov_b32 s0, 0
	global_load_b32 v2, v[4:5], off
	s_wait_loadcnt 0x0
	v_fmac_f32_e32 v10, s24, v2
	global_store_b32 v[4:5], v10, off
.LBB52_45:
	s_and_not1_b32 vcc_lo, exec_lo, s0
	s_cbranch_vccnz .LBB52_47
; %bb.46:
	s_wait_xcnt 0x0
	v_mul_u64_e32 v[4:5], s[2:3], v[0:1]
	v_mul_f32_e32 v10, s6, v3
	s_delay_alu instid0(VALU_DEP_2)
	v_lshl_add_u64 v[4:5], v[4:5], 2, v[6:7]
	global_load_b32 v2, v[4:5], off
	s_wait_loadcnt 0x0
	v_fmac_f32_e32 v10, s24, v2
	global_store_b32 v[4:5], v10, off
.LBB52_47:
	s_cbranch_execz .LBB52_50
.LBB52_48:
	s_endpgm
.LBB52_49:
.LBB52_50:
	v_mul_f32_e32 v2, s6, v3
	s_and_not1_b32 vcc_lo, exec_lo, s1
	s_mov_b32 s0, -1
	s_cbranch_vccnz .LBB52_52
; %bb.51:
	s_wait_xcnt 0x0
	v_lshl_add_u64 v[4:5], v[0:1], 2, v[8:9]
	s_mov_b32 s0, 0
	global_store_b32 v[4:5], v2, off
.LBB52_52:
	s_and_not1_b32 vcc_lo, exec_lo, s0
	s_cbranch_vccnz .LBB52_48
; %bb.53:
	v_mul_u64_e32 v[0:1], s[2:3], v[0:1]
	s_delay_alu instid0(VALU_DEP_1)
	v_lshl_add_u64 v[0:1], v[0:1], 2, v[6:7]
	global_store_b32 v[0:1], v2, off
	s_endpgm
	.section	.rodata,"a",@progbits
	.p2align	6, 0x0
	.amdhsa_kernel _ZN9rocsparseL31bsrmm_large_blockdim_kernel_extILj8ELj8ELj2EliDF16_DF16_ffEEvb20rocsparse_direction_T3_S2_llNS_24const_host_device_scalarIT7_EEPKT2_PKS2_PKT4_S2_PKT5_llS5_PT6_ll16rocsparse_order_21rocsparse_index_base_b
		.amdhsa_group_segment_fixed_size 768
		.amdhsa_private_segment_fixed_size 0
		.amdhsa_kernarg_size 140
		.amdhsa_user_sgpr_count 2
		.amdhsa_user_sgpr_dispatch_ptr 0
		.amdhsa_user_sgpr_queue_ptr 0
		.amdhsa_user_sgpr_kernarg_segment_ptr 1
		.amdhsa_user_sgpr_dispatch_id 0
		.amdhsa_user_sgpr_kernarg_preload_length 0
		.amdhsa_user_sgpr_kernarg_preload_offset 0
		.amdhsa_user_sgpr_private_segment_size 0
		.amdhsa_wavefront_size32 1
		.amdhsa_uses_dynamic_stack 0
		.amdhsa_enable_private_segment 0
		.amdhsa_system_sgpr_workgroup_id_x 1
		.amdhsa_system_sgpr_workgroup_id_y 1
		.amdhsa_system_sgpr_workgroup_id_z 0
		.amdhsa_system_sgpr_workgroup_info 0
		.amdhsa_system_vgpr_workitem_id 1
		.amdhsa_next_free_vgpr 26
		.amdhsa_next_free_sgpr 36
		.amdhsa_named_barrier_count 0
		.amdhsa_reserve_vcc 1
		.amdhsa_float_round_mode_32 0
		.amdhsa_float_round_mode_16_64 0
		.amdhsa_float_denorm_mode_32 3
		.amdhsa_float_denorm_mode_16_64 3
		.amdhsa_fp16_overflow 0
		.amdhsa_memory_ordered 1
		.amdhsa_forward_progress 1
		.amdhsa_inst_pref_size 14
		.amdhsa_round_robin_scheduling 0
		.amdhsa_exception_fp_ieee_invalid_op 0
		.amdhsa_exception_fp_denorm_src 0
		.amdhsa_exception_fp_ieee_div_zero 0
		.amdhsa_exception_fp_ieee_overflow 0
		.amdhsa_exception_fp_ieee_underflow 0
		.amdhsa_exception_fp_ieee_inexact 0
		.amdhsa_exception_int_div_zero 0
	.end_amdhsa_kernel
	.section	.text._ZN9rocsparseL31bsrmm_large_blockdim_kernel_extILj8ELj8ELj2EliDF16_DF16_ffEEvb20rocsparse_direction_T3_S2_llNS_24const_host_device_scalarIT7_EEPKT2_PKS2_PKT4_S2_PKT5_llS5_PT6_ll16rocsparse_order_21rocsparse_index_base_b,"axG",@progbits,_ZN9rocsparseL31bsrmm_large_blockdim_kernel_extILj8ELj8ELj2EliDF16_DF16_ffEEvb20rocsparse_direction_T3_S2_llNS_24const_host_device_scalarIT7_EEPKT2_PKS2_PKT4_S2_PKT5_llS5_PT6_ll16rocsparse_order_21rocsparse_index_base_b,comdat
.Lfunc_end52:
	.size	_ZN9rocsparseL31bsrmm_large_blockdim_kernel_extILj8ELj8ELj2EliDF16_DF16_ffEEvb20rocsparse_direction_T3_S2_llNS_24const_host_device_scalarIT7_EEPKT2_PKS2_PKT4_S2_PKT5_llS5_PT6_ll16rocsparse_order_21rocsparse_index_base_b, .Lfunc_end52-_ZN9rocsparseL31bsrmm_large_blockdim_kernel_extILj8ELj8ELj2EliDF16_DF16_ffEEvb20rocsparse_direction_T3_S2_llNS_24const_host_device_scalarIT7_EEPKT2_PKS2_PKT4_S2_PKT5_llS5_PT6_ll16rocsparse_order_21rocsparse_index_base_b
                                        ; -- End function
	.set _ZN9rocsparseL31bsrmm_large_blockdim_kernel_extILj8ELj8ELj2EliDF16_DF16_ffEEvb20rocsparse_direction_T3_S2_llNS_24const_host_device_scalarIT7_EEPKT2_PKS2_PKT4_S2_PKT5_llS5_PT6_ll16rocsparse_order_21rocsparse_index_base_b.num_vgpr, 26
	.set _ZN9rocsparseL31bsrmm_large_blockdim_kernel_extILj8ELj8ELj2EliDF16_DF16_ffEEvb20rocsparse_direction_T3_S2_llNS_24const_host_device_scalarIT7_EEPKT2_PKS2_PKT4_S2_PKT5_llS5_PT6_ll16rocsparse_order_21rocsparse_index_base_b.num_agpr, 0
	.set _ZN9rocsparseL31bsrmm_large_blockdim_kernel_extILj8ELj8ELj2EliDF16_DF16_ffEEvb20rocsparse_direction_T3_S2_llNS_24const_host_device_scalarIT7_EEPKT2_PKS2_PKT4_S2_PKT5_llS5_PT6_ll16rocsparse_order_21rocsparse_index_base_b.numbered_sgpr, 36
	.set _ZN9rocsparseL31bsrmm_large_blockdim_kernel_extILj8ELj8ELj2EliDF16_DF16_ffEEvb20rocsparse_direction_T3_S2_llNS_24const_host_device_scalarIT7_EEPKT2_PKS2_PKT4_S2_PKT5_llS5_PT6_ll16rocsparse_order_21rocsparse_index_base_b.num_named_barrier, 0
	.set _ZN9rocsparseL31bsrmm_large_blockdim_kernel_extILj8ELj8ELj2EliDF16_DF16_ffEEvb20rocsparse_direction_T3_S2_llNS_24const_host_device_scalarIT7_EEPKT2_PKS2_PKT4_S2_PKT5_llS5_PT6_ll16rocsparse_order_21rocsparse_index_base_b.private_seg_size, 0
	.set _ZN9rocsparseL31bsrmm_large_blockdim_kernel_extILj8ELj8ELj2EliDF16_DF16_ffEEvb20rocsparse_direction_T3_S2_llNS_24const_host_device_scalarIT7_EEPKT2_PKS2_PKT4_S2_PKT5_llS5_PT6_ll16rocsparse_order_21rocsparse_index_base_b.uses_vcc, 1
	.set _ZN9rocsparseL31bsrmm_large_blockdim_kernel_extILj8ELj8ELj2EliDF16_DF16_ffEEvb20rocsparse_direction_T3_S2_llNS_24const_host_device_scalarIT7_EEPKT2_PKS2_PKT4_S2_PKT5_llS5_PT6_ll16rocsparse_order_21rocsparse_index_base_b.uses_flat_scratch, 0
	.set _ZN9rocsparseL31bsrmm_large_blockdim_kernel_extILj8ELj8ELj2EliDF16_DF16_ffEEvb20rocsparse_direction_T3_S2_llNS_24const_host_device_scalarIT7_EEPKT2_PKS2_PKT4_S2_PKT5_llS5_PT6_ll16rocsparse_order_21rocsparse_index_base_b.has_dyn_sized_stack, 0
	.set _ZN9rocsparseL31bsrmm_large_blockdim_kernel_extILj8ELj8ELj2EliDF16_DF16_ffEEvb20rocsparse_direction_T3_S2_llNS_24const_host_device_scalarIT7_EEPKT2_PKS2_PKT4_S2_PKT5_llS5_PT6_ll16rocsparse_order_21rocsparse_index_base_b.has_recursion, 0
	.set _ZN9rocsparseL31bsrmm_large_blockdim_kernel_extILj8ELj8ELj2EliDF16_DF16_ffEEvb20rocsparse_direction_T3_S2_llNS_24const_host_device_scalarIT7_EEPKT2_PKS2_PKT4_S2_PKT5_llS5_PT6_ll16rocsparse_order_21rocsparse_index_base_b.has_indirect_call, 0
	.section	.AMDGPU.csdata,"",@progbits
; Kernel info:
; codeLenInByte = 1724
; TotalNumSgprs: 38
; NumVgprs: 26
; ScratchSize: 0
; MemoryBound: 0
; FloatMode: 240
; IeeeMode: 1
; LDSByteSize: 768 bytes/workgroup (compile time only)
; SGPRBlocks: 0
; VGPRBlocks: 1
; NumSGPRsForWavesPerEU: 38
; NumVGPRsForWavesPerEU: 26
; NamedBarCnt: 0
; Occupancy: 16
; WaveLimiterHint : 1
; COMPUTE_PGM_RSRC2:SCRATCH_EN: 0
; COMPUTE_PGM_RSRC2:USER_SGPR: 2
; COMPUTE_PGM_RSRC2:TRAP_HANDLER: 0
; COMPUTE_PGM_RSRC2:TGID_X_EN: 1
; COMPUTE_PGM_RSRC2:TGID_Y_EN: 1
; COMPUTE_PGM_RSRC2:TGID_Z_EN: 0
; COMPUTE_PGM_RSRC2:TIDIG_COMP_CNT: 1
	.section	.text._ZN9rocsparseL31bsrmm_large_blockdim_kernel_extILj4ELj16ELj2EliDF16_DF16_ffEEvb20rocsparse_direction_T3_S2_llNS_24const_host_device_scalarIT7_EEPKT2_PKS2_PKT4_S2_PKT5_llS5_PT6_ll16rocsparse_order_21rocsparse_index_base_b,"axG",@progbits,_ZN9rocsparseL31bsrmm_large_blockdim_kernel_extILj4ELj16ELj2EliDF16_DF16_ffEEvb20rocsparse_direction_T3_S2_llNS_24const_host_device_scalarIT7_EEPKT2_PKS2_PKT4_S2_PKT5_llS5_PT6_ll16rocsparse_order_21rocsparse_index_base_b,comdat
	.globl	_ZN9rocsparseL31bsrmm_large_blockdim_kernel_extILj4ELj16ELj2EliDF16_DF16_ffEEvb20rocsparse_direction_T3_S2_llNS_24const_host_device_scalarIT7_EEPKT2_PKS2_PKT4_S2_PKT5_llS5_PT6_ll16rocsparse_order_21rocsparse_index_base_b ; -- Begin function _ZN9rocsparseL31bsrmm_large_blockdim_kernel_extILj4ELj16ELj2EliDF16_DF16_ffEEvb20rocsparse_direction_T3_S2_llNS_24const_host_device_scalarIT7_EEPKT2_PKS2_PKT4_S2_PKT5_llS5_PT6_ll16rocsparse_order_21rocsparse_index_base_b
	.p2align	8
	.type	_ZN9rocsparseL31bsrmm_large_blockdim_kernel_extILj4ELj16ELj2EliDF16_DF16_ffEEvb20rocsparse_direction_T3_S2_llNS_24const_host_device_scalarIT7_EEPKT2_PKS2_PKT4_S2_PKT5_llS5_PT6_ll16rocsparse_order_21rocsparse_index_base_b,@function
_ZN9rocsparseL31bsrmm_large_blockdim_kernel_extILj4ELj16ELj2EliDF16_DF16_ffEEvb20rocsparse_direction_T3_S2_llNS_24const_host_device_scalarIT7_EEPKT2_PKS2_PKT4_S2_PKT5_llS5_PT6_ll16rocsparse_order_21rocsparse_index_base_b: ; @_ZN9rocsparseL31bsrmm_large_blockdim_kernel_extILj4ELj16ELj2EliDF16_DF16_ffEEvb20rocsparse_direction_T3_S2_llNS_24const_host_device_scalarIT7_EEPKT2_PKS2_PKT4_S2_PKT5_llS5_PT6_ll16rocsparse_order_21rocsparse_index_base_b
; %bb.0:
	s_clause 0x2
	s_load_b96 s[20:22], s[0:1], 0x80
	s_load_b64 s[6:7], s[0:1], 0x20
	s_load_b64 s[24:25], s[0:1], 0x60
	s_wait_kmcnt 0x0
	s_bitcmp1_b32 s22, 0
	s_cselect_b32 s2, -1, 0
	s_delay_alu instid0(SALU_CYCLE_1)
	s_and_b32 vcc_lo, exec_lo, s2
	s_xor_b32 s2, s2, -1
	s_cbranch_vccnz .LBB53_2
; %bb.1:
	s_load_b32 s6, s[6:7], 0x0
.LBB53_2:
	s_and_not1_b32 vcc_lo, exec_lo, s2
	s_cbranch_vccnz .LBB53_4
; %bb.3:
	s_load_b32 s24, s[24:25], 0x0
.LBB53_4:
	s_wait_kmcnt 0x0
	s_cmp_eq_f32 s6, 0
	s_cselect_b32 s2, -1, 0
	s_cmp_eq_f32 s24, 1.0
	s_cselect_b32 s3, -1, 0
	s_delay_alu instid0(SALU_CYCLE_1) | instskip(NEXT) | instid1(SALU_CYCLE_1)
	s_and_b32 s2, s2, s3
	s_and_b32 vcc_lo, exec_lo, s2
	s_cbranch_vccnz .LBB53_48
; %bb.5:
	s_clause 0x1
	s_load_b128 s[8:11], s[0:1], 0x0
	s_load_b64 s[2:3], s[0:1], 0x28
	s_bfe_u32 s4, ttmp6, 0x4000c
	s_and_b32 s5, ttmp6, 15
	s_add_co_i32 s4, s4, 1
	s_mov_b64 s[26:27], 0
	s_mul_i32 s7, ttmp9, s4
	s_getreg_b32 s4, hwreg(HW_REG_IB_STS2, 6, 4)
	s_add_co_i32 s5, s5, s7
	s_cmp_eq_u32 s4, 0
	s_mov_b64 s[28:29], 0
	s_cselect_b32 s22, ttmp9, s5
	s_wait_kmcnt 0x0
	s_cmp_lt_i32 s22, s10
	s_cselect_b32 s7, -1, 0
	s_cmp_ge_i32 s22, s10
	s_cbranch_scc1 .LBB53_7
; %bb.6:
	s_ashr_i32 s23, s22, 31
	s_mov_b32 s15, 0
	s_lshl_b64 s[12:13], s[22:23], 3
	s_mov_b32 s14, s21
	s_add_nc_u64 s[12:13], s[2:3], s[12:13]
	s_load_b64 s[12:13], s[12:13], 0x0
	s_wait_kmcnt 0x0
	s_sub_nc_u64 s[28:29], s[12:13], s[14:15]
.LBB53_7:
	s_and_not1_b32 vcc_lo, exec_lo, s7
	s_cbranch_vccnz .LBB53_9
; %bb.8:
	s_ashr_i32 s23, s22, 31
	s_delay_alu instid0(SALU_CYCLE_1) | instskip(NEXT) | instid1(SALU_CYCLE_1)
	s_lshl_b64 s[12:13], s[22:23], 3
	s_add_nc_u64 s[2:3], s[2:3], s[12:13]
	s_mov_b32 s13, 0
	s_load_b64 s[2:3], s[2:3], 0x8
	s_mov_b32 s12, s21
	s_wait_kmcnt 0x0
	s_sub_nc_u64 s[26:27], s[2:3], s[12:13]
.LBB53_9:
	s_bfe_u32 s2, ttmp6, 0x40010
	s_load_b32 s10, s[0:1], 0x40
	s_add_co_i32 s2, s2, 1
	s_bfe_u32 s3, ttmp6, 0x40004
	s_mul_i32 s2, ttmp7, s2
	v_bfe_u32 v2, v0, 10, 10
	s_add_co_i32 s3, s3, s2
	s_cmp_eq_u32 s4, 0
	v_and_b32_e32 v16, 0x3ff, v0
	s_cselect_b32 s2, ttmp7, s3
	s_mov_b32 s31, 0
	v_lshl_add_u32 v4, s2, 5, v2
	v_cmp_ge_i64_e64 s2, s[28:29], s[26:27]
	s_delay_alu instid0(VALU_DEP_2)
	v_add_nc_u32_e32 v0, 16, v4
	v_cmp_gt_i32_e64 s3, s11, v4
	s_and_b32 vcc_lo, exec_lo, s2
	s_wait_kmcnt 0x0
	v_cmp_gt_i32_e64 s2, s10, v16
	v_cmp_gt_i32_e64 s4, s11, v0
	s_cbranch_vccnz .LBB53_27
; %bb.10:
	s_clause 0x1
	s_load_b128 s[12:15], s[0:1], 0x30
	s_load_b128 s[16:19], s[0:1], 0x48
	v_mul_lo_u32 v10, s10, v2
	v_dual_mov_b32 v11, 0 :: v_dual_ashrrev_i32 v5, 31, v4
	v_ashrrev_i32_e32 v1, 31, v0
	v_cmp_gt_i32_e32 vcc_lo, s10, v2
	v_lshl_add_u32 v21, v2, 2, 0x200
	v_dual_lshlrev_b32 v22, 4, v16 :: v_dual_lshlrev_b32 v17, 4, v2
	s_mul_i32 s30, s10, s10
	s_delay_alu instid0(VALU_DEP_1) | instskip(NEXT) | instid1(VALU_DEP_1)
	v_dual_lshlrev_b32 v20, 2, v16 :: v_dual_add_nc_u32 v21, v21, v22
	v_add_nc_u32_e32 v20, v20, v17
	s_wait_kmcnt 0x0
	v_lshl_add_u64 v[12:13], v[10:11], 1, s[14:15]
	v_lshlrev_b32_e32 v10, 1, v16
	v_mul_u64_e32 v[6:7], s[18:19], v[4:5]
	s_delay_alu instid0(VALU_DEP_2) | instskip(SKIP_1) | instid1(VALU_DEP_1)
	v_add_nc_u64_e32 v[12:13], v[12:13], v[10:11]
	v_mul_lo_u32 v10, s10, v16
	v_lshl_add_u64 v[14:15], v[10:11], 1, s[14:15]
	v_lshlrev_b32_e32 v10, 1, v2
	v_mul_u64_e32 v[8:9], s[18:19], v[0:1]
	s_and_b32 s14, s2, vcc_lo
	s_bitcmp1_b32 s8, 0
	v_mov_b64_e32 v[2:3], 0
	v_add_nc_u64_e32 v[10:11], v[14:15], v[10:11]
	s_cselect_b32 s5, -1, 0
	s_cmp_eq_u32 s9, 0
	s_cselect_b32 vcc_lo, -1, 0
	v_add_nc_u32_e32 v18, 0x200, v22
	s_delay_alu instid0(VALU_DEP_2) | instskip(NEXT) | instid1(VALU_DEP_3)
	v_dual_cndmask_b32 v10, v12, v10 :: v_dual_add_nc_u32 v19, 0x100, v17
	v_cndmask_b32_e32 v11, v13, v11, vcc_lo
	s_branch .LBB53_13
.LBB53_11:                              ;   in Loop: Header=BB53_13 Depth=1
	s_or_b32 exec_lo, exec_lo, s9
.LBB53_12:                              ;   in Loop: Header=BB53_13 Depth=1
	s_delay_alu instid0(SALU_CYCLE_1) | instskip(SKIP_1) | instid1(SALU_CYCLE_1)
	s_or_b32 exec_lo, exec_lo, s8
	s_add_nc_u64 s[28:29], s[28:29], 1
	v_cmp_ge_i64_e64 s8, s[28:29], s[26:27]
	s_barrier_signal -1
	s_barrier_wait -1
	s_and_b32 vcc_lo, exec_lo, s8
	s_cbranch_vccnz .LBB53_28
.LBB53_13:                              ; =>This Loop Header: Depth=1
                                        ;     Child Loop BB53_23 Depth 2
                                        ;     Child Loop BB53_26 Depth 2
	s_and_saveexec_b32 s8, s2
	s_cbranch_execz .LBB53_18
; %bb.14:                               ;   in Loop: Header=BB53_13 Depth=1
	s_lshl_b64 s[34:35], s[28:29], 2
	s_delay_alu instid0(SALU_CYCLE_1) | instskip(SKIP_3) | instid1(SALU_CYCLE_1)
	s_add_nc_u64 s[34:35], s[12:13], s[34:35]
	s_load_b32 s9, s[34:35], 0x0
	s_wait_kmcnt 0x0
	s_sub_co_i32 s9, s9, s21
	v_mad_u32 v14, s9, s10, v16
	s_delay_alu instid0(VALU_DEP_1) | instskip(NEXT) | instid1(VALU_DEP_1)
	v_ashrrev_i32_e32 v15, 31, v14
	v_mul_u64_e32 v[12:13], s[18:19], v[14:15]
	v_lshl_add_u64 v[14:15], v[14:15], 1, s[16:17]
	s_delay_alu instid0(VALU_DEP_2)
	v_lshl_add_u64 v[12:13], v[12:13], 1, s[16:17]
	s_and_saveexec_b32 s9, s3
	s_cbranch_execz .LBB53_16
; %bb.15:                               ;   in Loop: Header=BB53_13 Depth=1
	s_delay_alu instid0(VALU_DEP_1) | instskip(SKIP_1) | instid1(VALU_DEP_1)
	v_lshl_add_u64 v[22:23], v[4:5], 1, v[12:13]
	v_lshl_add_u64 v[24:25], v[6:7], 1, v[14:15]
	v_dual_cndmask_b32 v23, v23, v25, s5 :: v_dual_cndmask_b32 v22, v22, v24, s5
	global_load_u16 v22, v[22:23], off
	s_wait_loadcnt 0x0
	v_cvt_f32_f16_e32 v22, v22
	ds_store_b32 v20, v22
.LBB53_16:                              ;   in Loop: Header=BB53_13 Depth=1
	s_or_b32 exec_lo, exec_lo, s9
	s_delay_alu instid0(SALU_CYCLE_1)
	s_and_b32 exec_lo, exec_lo, s4
	s_cbranch_execz .LBB53_18
; %bb.17:                               ;   in Loop: Header=BB53_13 Depth=1
	v_lshl_add_u64 v[14:15], v[8:9], 1, v[14:15]
	v_lshl_add_u64 v[12:13], v[0:1], 1, v[12:13]
	s_delay_alu instid0(VALU_DEP_1)
	v_dual_cndmask_b32 v13, v13, v15, s5 :: v_dual_cndmask_b32 v12, v12, v14, s5
	global_load_u16 v12, v[12:13], off
	s_wait_loadcnt 0x0
	v_cvt_f32_f16_e32 v12, v12
	ds_store_b32 v20, v12 offset:256
.LBB53_18:                              ;   in Loop: Header=BB53_13 Depth=1
	s_or_b32 exec_lo, exec_lo, s8
	s_and_saveexec_b32 s8, s14
	s_cbranch_execz .LBB53_20
; %bb.19:                               ;   in Loop: Header=BB53_13 Depth=1
	s_mul_u64 s[34:35], s[28:29], s[30:31]
	s_delay_alu instid0(SALU_CYCLE_1)
	v_lshl_add_u64 v[12:13], s[34:35], 1, v[10:11]
	global_load_u16 v12, v[12:13], off
	s_wait_loadcnt 0x0
	v_cvt_f32_f16_e32 v12, v12
	ds_store_b32 v21, v12
.LBB53_20:                              ;   in Loop: Header=BB53_13 Depth=1
	s_or_b32 exec_lo, exec_lo, s8
	s_wait_dscnt 0x0
	s_barrier_signal -1
	s_barrier_wait -1
	s_and_saveexec_b32 s8, s2
	s_cbranch_execz .LBB53_12
; %bb.21:                               ;   in Loop: Header=BB53_13 Depth=1
	s_and_saveexec_b32 s9, s3
	s_cbranch_execz .LBB53_24
; %bb.22:                               ;   in Loop: Header=BB53_13 Depth=1
	v_dual_mov_b32 v12, v18 :: v_dual_mov_b32 v13, v17
	s_mov_b32 s15, s10
.LBB53_23:                              ;   Parent Loop BB53_13 Depth=1
                                        ; =>  This Inner Loop Header: Depth=2
	ds_load_b32 v14, v12
	ds_load_b32 v15, v13
	v_dual_add_nc_u32 v13, 4, v13 :: v_dual_add_nc_u32 v12, 4, v12
	s_add_co_i32 s15, s15, -1
	s_delay_alu instid0(SALU_CYCLE_1)
	s_cmp_lg_u32 s15, 0
	s_wait_dscnt 0x0
	v_fma_f32 v2, v14, v15, v2
	s_cbranch_scc1 .LBB53_23
.LBB53_24:                              ;   in Loop: Header=BB53_13 Depth=1
	s_or_b32 exec_lo, exec_lo, s9
	s_and_saveexec_b32 s9, s4
	s_cbranch_execz .LBB53_11
; %bb.25:                               ;   in Loop: Header=BB53_13 Depth=1
	v_dual_mov_b32 v12, v18 :: v_dual_mov_b32 v13, v19
	s_mov_b32 s15, s10
.LBB53_26:                              ;   Parent Loop BB53_13 Depth=1
                                        ; =>  This Inner Loop Header: Depth=2
	ds_load_b32 v14, v12
	ds_load_b32 v15, v13
	v_dual_add_nc_u32 v13, 4, v13 :: v_dual_add_nc_u32 v12, 4, v12
	s_add_co_i32 s15, s15, -1
	s_delay_alu instid0(SALU_CYCLE_1)
	s_cmp_lg_u32 s15, 0
	s_wait_dscnt 0x0
	v_fma_f32 v3, v14, v15, v3
	s_cbranch_scc1 .LBB53_26
	s_branch .LBB53_11
.LBB53_27:
	v_mov_b64_e32 v[2:3], 0
.LBB53_28:
	s_load_b64 s[4:5], s[0:1], 0x68
	s_and_b32 s2, s7, s2
	s_delay_alu instid0(SALU_CYCLE_1)
	s_and_saveexec_b32 s3, s2
	s_cbranch_execz .LBB53_48
; %bb.29:
	s_load_b64 s[2:3], s[0:1], 0x70
	v_mad_u32 v6, s10, s22, v16
	s_cmp_neq_f32 s24, 0
	s_wait_xcnt 0x0
	s_mov_b32 s0, exec_lo
	s_cselect_b32 s7, -1, 0
	s_cmp_lg_u32 s20, 1
	s_cselect_b32 s1, -1, 0
	s_delay_alu instid0(VALU_DEP_1) | instskip(SKIP_1) | instid1(VALU_DEP_1)
	v_ashrrev_i32_e32 v7, 31, v6
	s_wait_kmcnt 0x0
	v_mul_u64_e32 v[8:9], s[2:3], v[6:7]
	v_lshl_add_u64 v[6:7], v[6:7], 2, s[4:5]
	s_delay_alu instid0(VALU_DEP_2)
	v_lshl_add_u64 v[8:9], v[8:9], 2, s[4:5]
	v_cmpx_gt_i32_e64 s11, v4
	s_cbranch_execz .LBB53_41
; %bb.30:
	v_ashrrev_i32_e32 v5, 31, v4
	s_and_b32 vcc_lo, exec_lo, s7
	s_cbranch_vccz .LBB53_36
; %bb.31:
	s_and_b32 vcc_lo, exec_lo, s1
	s_mov_b32 s4, -1
	s_cbranch_vccz .LBB53_33
; %bb.32:
	v_lshl_add_u64 v[10:11], v[4:5], 2, v[8:9]
	v_mul_f32_e32 v12, s6, v2
	s_mov_b32 s4, 0
	global_load_b32 v1, v[10:11], off
	s_wait_loadcnt 0x0
	v_fmac_f32_e32 v12, s24, v1
	global_store_b32 v[10:11], v12, off
.LBB53_33:
	s_and_not1_b32 vcc_lo, exec_lo, s4
	s_cbranch_vccnz .LBB53_35
; %bb.34:
	s_wait_xcnt 0x0
	v_mul_u64_e32 v[10:11], s[2:3], v[4:5]
	v_mul_f32_e32 v12, s6, v2
	s_delay_alu instid0(VALU_DEP_2)
	v_lshl_add_u64 v[10:11], v[10:11], 2, v[6:7]
	global_load_b32 v1, v[10:11], off
	s_wait_loadcnt 0x0
	v_fmac_f32_e32 v12, s24, v1
	global_store_b32 v[10:11], v12, off
.LBB53_35:
	s_cbranch_execz .LBB53_37
	s_branch .LBB53_41
.LBB53_36:
.LBB53_37:
	v_mul_f32_e32 v1, s6, v2
	s_and_b32 vcc_lo, exec_lo, s1
	s_mov_b32 s4, -1
	s_cbranch_vccz .LBB53_39
; %bb.38:
	s_wait_xcnt 0x0
	v_lshl_add_u64 v[10:11], v[4:5], 2, v[8:9]
	s_mov_b32 s4, 0
	global_store_b32 v[10:11], v1, off
.LBB53_39:
	s_and_not1_b32 vcc_lo, exec_lo, s4
	s_cbranch_vccnz .LBB53_41
; %bb.40:
	v_mul_u64_e32 v[4:5], s[2:3], v[4:5]
	s_delay_alu instid0(VALU_DEP_1)
	v_lshl_add_u64 v[4:5], v[4:5], 2, v[6:7]
	global_store_b32 v[4:5], v1, off
.LBB53_41:
	s_wait_xcnt 0x0
	s_or_b32 exec_lo, exec_lo, s0
	v_cmp_gt_i32_e32 vcc_lo, s11, v0
	s_and_b32 exec_lo, exec_lo, vcc_lo
	s_cbranch_execz .LBB53_48
; %bb.42:
	v_cndmask_b32_e64 v2, 0, 1, s1
	v_ashrrev_i32_e32 v1, 31, v0
	s_and_not1_b32 vcc_lo, exec_lo, s7
	s_delay_alu instid0(VALU_DEP_2)
	v_cmp_ne_u32_e64 s0, 1, v2
	s_cbranch_vccnz .LBB53_49
; %bb.43:
	s_and_b32 vcc_lo, exec_lo, s0
	s_mov_b32 s0, -1
	s_cbranch_vccnz .LBB53_45
; %bb.44:
	v_lshl_add_u64 v[4:5], v[0:1], 2, v[8:9]
	v_mul_f32_e32 v10, s6, v3
	s_mov_b32 s0, 0
	global_load_b32 v2, v[4:5], off
	s_wait_loadcnt 0x0
	v_fmac_f32_e32 v10, s24, v2
	global_store_b32 v[4:5], v10, off
.LBB53_45:
	s_and_not1_b32 vcc_lo, exec_lo, s0
	s_cbranch_vccnz .LBB53_47
; %bb.46:
	s_wait_xcnt 0x0
	v_mul_u64_e32 v[4:5], s[2:3], v[0:1]
	v_mul_f32_e32 v10, s6, v3
	s_delay_alu instid0(VALU_DEP_2)
	v_lshl_add_u64 v[4:5], v[4:5], 2, v[6:7]
	global_load_b32 v2, v[4:5], off
	s_wait_loadcnt 0x0
	v_fmac_f32_e32 v10, s24, v2
	global_store_b32 v[4:5], v10, off
.LBB53_47:
	s_cbranch_execz .LBB53_50
.LBB53_48:
	s_endpgm
.LBB53_49:
.LBB53_50:
	v_mul_f32_e32 v2, s6, v3
	s_and_not1_b32 vcc_lo, exec_lo, s1
	s_mov_b32 s0, -1
	s_cbranch_vccnz .LBB53_52
; %bb.51:
	s_wait_xcnt 0x0
	v_lshl_add_u64 v[4:5], v[0:1], 2, v[8:9]
	s_mov_b32 s0, 0
	global_store_b32 v[4:5], v2, off
.LBB53_52:
	s_and_not1_b32 vcc_lo, exec_lo, s0
	s_cbranch_vccnz .LBB53_48
; %bb.53:
	v_mul_u64_e32 v[0:1], s[2:3], v[0:1]
	s_delay_alu instid0(VALU_DEP_1)
	v_lshl_add_u64 v[0:1], v[0:1], 2, v[6:7]
	global_store_b32 v[0:1], v2, off
	s_endpgm
	.section	.rodata,"a",@progbits
	.p2align	6, 0x0
	.amdhsa_kernel _ZN9rocsparseL31bsrmm_large_blockdim_kernel_extILj4ELj16ELj2EliDF16_DF16_ffEEvb20rocsparse_direction_T3_S2_llNS_24const_host_device_scalarIT7_EEPKT2_PKS2_PKT4_S2_PKT5_llS5_PT6_ll16rocsparse_order_21rocsparse_index_base_b
		.amdhsa_group_segment_fixed_size 576
		.amdhsa_private_segment_fixed_size 0
		.amdhsa_kernarg_size 140
		.amdhsa_user_sgpr_count 2
		.amdhsa_user_sgpr_dispatch_ptr 0
		.amdhsa_user_sgpr_queue_ptr 0
		.amdhsa_user_sgpr_kernarg_segment_ptr 1
		.amdhsa_user_sgpr_dispatch_id 0
		.amdhsa_user_sgpr_kernarg_preload_length 0
		.amdhsa_user_sgpr_kernarg_preload_offset 0
		.amdhsa_user_sgpr_private_segment_size 0
		.amdhsa_wavefront_size32 1
		.amdhsa_uses_dynamic_stack 0
		.amdhsa_enable_private_segment 0
		.amdhsa_system_sgpr_workgroup_id_x 1
		.amdhsa_system_sgpr_workgroup_id_y 1
		.amdhsa_system_sgpr_workgroup_id_z 0
		.amdhsa_system_sgpr_workgroup_info 0
		.amdhsa_system_vgpr_workitem_id 1
		.amdhsa_next_free_vgpr 26
		.amdhsa_next_free_sgpr 36
		.amdhsa_named_barrier_count 0
		.amdhsa_reserve_vcc 1
		.amdhsa_float_round_mode_32 0
		.amdhsa_float_round_mode_16_64 0
		.amdhsa_float_denorm_mode_32 3
		.amdhsa_float_denorm_mode_16_64 3
		.amdhsa_fp16_overflow 0
		.amdhsa_memory_ordered 1
		.amdhsa_forward_progress 1
		.amdhsa_inst_pref_size 14
		.amdhsa_round_robin_scheduling 0
		.amdhsa_exception_fp_ieee_invalid_op 0
		.amdhsa_exception_fp_denorm_src 0
		.amdhsa_exception_fp_ieee_div_zero 0
		.amdhsa_exception_fp_ieee_overflow 0
		.amdhsa_exception_fp_ieee_underflow 0
		.amdhsa_exception_fp_ieee_inexact 0
		.amdhsa_exception_int_div_zero 0
	.end_amdhsa_kernel
	.section	.text._ZN9rocsparseL31bsrmm_large_blockdim_kernel_extILj4ELj16ELj2EliDF16_DF16_ffEEvb20rocsparse_direction_T3_S2_llNS_24const_host_device_scalarIT7_EEPKT2_PKS2_PKT4_S2_PKT5_llS5_PT6_ll16rocsparse_order_21rocsparse_index_base_b,"axG",@progbits,_ZN9rocsparseL31bsrmm_large_blockdim_kernel_extILj4ELj16ELj2EliDF16_DF16_ffEEvb20rocsparse_direction_T3_S2_llNS_24const_host_device_scalarIT7_EEPKT2_PKS2_PKT4_S2_PKT5_llS5_PT6_ll16rocsparse_order_21rocsparse_index_base_b,comdat
.Lfunc_end53:
	.size	_ZN9rocsparseL31bsrmm_large_blockdim_kernel_extILj4ELj16ELj2EliDF16_DF16_ffEEvb20rocsparse_direction_T3_S2_llNS_24const_host_device_scalarIT7_EEPKT2_PKS2_PKT4_S2_PKT5_llS5_PT6_ll16rocsparse_order_21rocsparse_index_base_b, .Lfunc_end53-_ZN9rocsparseL31bsrmm_large_blockdim_kernel_extILj4ELj16ELj2EliDF16_DF16_ffEEvb20rocsparse_direction_T3_S2_llNS_24const_host_device_scalarIT7_EEPKT2_PKS2_PKT4_S2_PKT5_llS5_PT6_ll16rocsparse_order_21rocsparse_index_base_b
                                        ; -- End function
	.set _ZN9rocsparseL31bsrmm_large_blockdim_kernel_extILj4ELj16ELj2EliDF16_DF16_ffEEvb20rocsparse_direction_T3_S2_llNS_24const_host_device_scalarIT7_EEPKT2_PKS2_PKT4_S2_PKT5_llS5_PT6_ll16rocsparse_order_21rocsparse_index_base_b.num_vgpr, 26
	.set _ZN9rocsparseL31bsrmm_large_blockdim_kernel_extILj4ELj16ELj2EliDF16_DF16_ffEEvb20rocsparse_direction_T3_S2_llNS_24const_host_device_scalarIT7_EEPKT2_PKS2_PKT4_S2_PKT5_llS5_PT6_ll16rocsparse_order_21rocsparse_index_base_b.num_agpr, 0
	.set _ZN9rocsparseL31bsrmm_large_blockdim_kernel_extILj4ELj16ELj2EliDF16_DF16_ffEEvb20rocsparse_direction_T3_S2_llNS_24const_host_device_scalarIT7_EEPKT2_PKS2_PKT4_S2_PKT5_llS5_PT6_ll16rocsparse_order_21rocsparse_index_base_b.numbered_sgpr, 36
	.set _ZN9rocsparseL31bsrmm_large_blockdim_kernel_extILj4ELj16ELj2EliDF16_DF16_ffEEvb20rocsparse_direction_T3_S2_llNS_24const_host_device_scalarIT7_EEPKT2_PKS2_PKT4_S2_PKT5_llS5_PT6_ll16rocsparse_order_21rocsparse_index_base_b.num_named_barrier, 0
	.set _ZN9rocsparseL31bsrmm_large_blockdim_kernel_extILj4ELj16ELj2EliDF16_DF16_ffEEvb20rocsparse_direction_T3_S2_llNS_24const_host_device_scalarIT7_EEPKT2_PKS2_PKT4_S2_PKT5_llS5_PT6_ll16rocsparse_order_21rocsparse_index_base_b.private_seg_size, 0
	.set _ZN9rocsparseL31bsrmm_large_blockdim_kernel_extILj4ELj16ELj2EliDF16_DF16_ffEEvb20rocsparse_direction_T3_S2_llNS_24const_host_device_scalarIT7_EEPKT2_PKS2_PKT4_S2_PKT5_llS5_PT6_ll16rocsparse_order_21rocsparse_index_base_b.uses_vcc, 1
	.set _ZN9rocsparseL31bsrmm_large_blockdim_kernel_extILj4ELj16ELj2EliDF16_DF16_ffEEvb20rocsparse_direction_T3_S2_llNS_24const_host_device_scalarIT7_EEPKT2_PKS2_PKT4_S2_PKT5_llS5_PT6_ll16rocsparse_order_21rocsparse_index_base_b.uses_flat_scratch, 0
	.set _ZN9rocsparseL31bsrmm_large_blockdim_kernel_extILj4ELj16ELj2EliDF16_DF16_ffEEvb20rocsparse_direction_T3_S2_llNS_24const_host_device_scalarIT7_EEPKT2_PKS2_PKT4_S2_PKT5_llS5_PT6_ll16rocsparse_order_21rocsparse_index_base_b.has_dyn_sized_stack, 0
	.set _ZN9rocsparseL31bsrmm_large_blockdim_kernel_extILj4ELj16ELj2EliDF16_DF16_ffEEvb20rocsparse_direction_T3_S2_llNS_24const_host_device_scalarIT7_EEPKT2_PKS2_PKT4_S2_PKT5_llS5_PT6_ll16rocsparse_order_21rocsparse_index_base_b.has_recursion, 0
	.set _ZN9rocsparseL31bsrmm_large_blockdim_kernel_extILj4ELj16ELj2EliDF16_DF16_ffEEvb20rocsparse_direction_T3_S2_llNS_24const_host_device_scalarIT7_EEPKT2_PKS2_PKT4_S2_PKT5_llS5_PT6_ll16rocsparse_order_21rocsparse_index_base_b.has_indirect_call, 0
	.section	.AMDGPU.csdata,"",@progbits
; Kernel info:
; codeLenInByte = 1724
; TotalNumSgprs: 38
; NumVgprs: 26
; ScratchSize: 0
; MemoryBound: 0
; FloatMode: 240
; IeeeMode: 1
; LDSByteSize: 576 bytes/workgroup (compile time only)
; SGPRBlocks: 0
; VGPRBlocks: 1
; NumSGPRsForWavesPerEU: 38
; NumVGPRsForWavesPerEU: 26
; NamedBarCnt: 0
; Occupancy: 16
; WaveLimiterHint : 1
; COMPUTE_PGM_RSRC2:SCRATCH_EN: 0
; COMPUTE_PGM_RSRC2:USER_SGPR: 2
; COMPUTE_PGM_RSRC2:TRAP_HANDLER: 0
; COMPUTE_PGM_RSRC2:TGID_X_EN: 1
; COMPUTE_PGM_RSRC2:TGID_Y_EN: 1
; COMPUTE_PGM_RSRC2:TGID_Z_EN: 0
; COMPUTE_PGM_RSRC2:TIDIG_COMP_CNT: 1
	.section	.text._ZN9rocsparseL31bsrmm_large_blockdim_kernel_extILj16ELj16ELj2EliDF16_DF16_ffEEvb20rocsparse_direction_T3_S2_llNS_24const_host_device_scalarIT7_EEPKT2_PKS2_PKT4_S2_PKT5_llS5_PT6_ll16rocsparse_order_21rocsparse_index_base_b,"axG",@progbits,_ZN9rocsparseL31bsrmm_large_blockdim_kernel_extILj16ELj16ELj2EliDF16_DF16_ffEEvb20rocsparse_direction_T3_S2_llNS_24const_host_device_scalarIT7_EEPKT2_PKS2_PKT4_S2_PKT5_llS5_PT6_ll16rocsparse_order_21rocsparse_index_base_b,comdat
	.globl	_ZN9rocsparseL31bsrmm_large_blockdim_kernel_extILj16ELj16ELj2EliDF16_DF16_ffEEvb20rocsparse_direction_T3_S2_llNS_24const_host_device_scalarIT7_EEPKT2_PKS2_PKT4_S2_PKT5_llS5_PT6_ll16rocsparse_order_21rocsparse_index_base_b ; -- Begin function _ZN9rocsparseL31bsrmm_large_blockdim_kernel_extILj16ELj16ELj2EliDF16_DF16_ffEEvb20rocsparse_direction_T3_S2_llNS_24const_host_device_scalarIT7_EEPKT2_PKS2_PKT4_S2_PKT5_llS5_PT6_ll16rocsparse_order_21rocsparse_index_base_b
	.p2align	8
	.type	_ZN9rocsparseL31bsrmm_large_blockdim_kernel_extILj16ELj16ELj2EliDF16_DF16_ffEEvb20rocsparse_direction_T3_S2_llNS_24const_host_device_scalarIT7_EEPKT2_PKS2_PKT4_S2_PKT5_llS5_PT6_ll16rocsparse_order_21rocsparse_index_base_b,@function
_ZN9rocsparseL31bsrmm_large_blockdim_kernel_extILj16ELj16ELj2EliDF16_DF16_ffEEvb20rocsparse_direction_T3_S2_llNS_24const_host_device_scalarIT7_EEPKT2_PKS2_PKT4_S2_PKT5_llS5_PT6_ll16rocsparse_order_21rocsparse_index_base_b: ; @_ZN9rocsparseL31bsrmm_large_blockdim_kernel_extILj16ELj16ELj2EliDF16_DF16_ffEEvb20rocsparse_direction_T3_S2_llNS_24const_host_device_scalarIT7_EEPKT2_PKS2_PKT4_S2_PKT5_llS5_PT6_ll16rocsparse_order_21rocsparse_index_base_b
; %bb.0:
	s_clause 0x2
	s_load_b96 s[20:22], s[0:1], 0x80
	s_load_b64 s[6:7], s[0:1], 0x20
	s_load_b64 s[24:25], s[0:1], 0x60
	s_wait_kmcnt 0x0
	s_bitcmp1_b32 s22, 0
	s_cselect_b32 s2, -1, 0
	s_delay_alu instid0(SALU_CYCLE_1)
	s_and_b32 vcc_lo, exec_lo, s2
	s_xor_b32 s2, s2, -1
	s_cbranch_vccnz .LBB54_2
; %bb.1:
	s_load_b32 s6, s[6:7], 0x0
.LBB54_2:
	s_and_not1_b32 vcc_lo, exec_lo, s2
	s_cbranch_vccnz .LBB54_4
; %bb.3:
	s_load_b32 s24, s[24:25], 0x0
.LBB54_4:
	s_wait_kmcnt 0x0
	s_cmp_eq_f32 s6, 0
	s_cselect_b32 s2, -1, 0
	s_cmp_eq_f32 s24, 1.0
	s_cselect_b32 s3, -1, 0
	s_delay_alu instid0(SALU_CYCLE_1) | instskip(NEXT) | instid1(SALU_CYCLE_1)
	s_and_b32 s2, s2, s3
	s_and_b32 vcc_lo, exec_lo, s2
	s_cbranch_vccnz .LBB54_48
; %bb.5:
	s_clause 0x1
	s_load_b128 s[8:11], s[0:1], 0x0
	s_load_b64 s[2:3], s[0:1], 0x28
	s_bfe_u32 s4, ttmp6, 0x4000c
	s_and_b32 s5, ttmp6, 15
	s_add_co_i32 s4, s4, 1
	s_mov_b64 s[26:27], 0
	s_mul_i32 s7, ttmp9, s4
	s_getreg_b32 s4, hwreg(HW_REG_IB_STS2, 6, 4)
	s_add_co_i32 s5, s5, s7
	s_cmp_eq_u32 s4, 0
	s_mov_b64 s[28:29], 0
	s_cselect_b32 s22, ttmp9, s5
	s_wait_kmcnt 0x0
	s_cmp_lt_i32 s22, s10
	s_cselect_b32 s7, -1, 0
	s_cmp_ge_i32 s22, s10
	s_cbranch_scc1 .LBB54_7
; %bb.6:
	s_ashr_i32 s23, s22, 31
	s_mov_b32 s15, 0
	s_lshl_b64 s[12:13], s[22:23], 3
	s_mov_b32 s14, s21
	s_add_nc_u64 s[12:13], s[2:3], s[12:13]
	s_load_b64 s[12:13], s[12:13], 0x0
	s_wait_kmcnt 0x0
	s_sub_nc_u64 s[28:29], s[12:13], s[14:15]
.LBB54_7:
	s_and_not1_b32 vcc_lo, exec_lo, s7
	s_cbranch_vccnz .LBB54_9
; %bb.8:
	s_ashr_i32 s23, s22, 31
	s_delay_alu instid0(SALU_CYCLE_1) | instskip(NEXT) | instid1(SALU_CYCLE_1)
	s_lshl_b64 s[12:13], s[22:23], 3
	s_add_nc_u64 s[2:3], s[2:3], s[12:13]
	s_mov_b32 s13, 0
	s_load_b64 s[2:3], s[2:3], 0x8
	s_mov_b32 s12, s21
	s_wait_kmcnt 0x0
	s_sub_nc_u64 s[26:27], s[2:3], s[12:13]
.LBB54_9:
	s_bfe_u32 s2, ttmp6, 0x40010
	s_load_b32 s10, s[0:1], 0x40
	s_add_co_i32 s2, s2, 1
	s_bfe_u32 s3, ttmp6, 0x40004
	s_mul_i32 s2, ttmp7, s2
	v_bfe_u32 v2, v0, 10, 10
	s_add_co_i32 s3, s3, s2
	s_cmp_eq_u32 s4, 0
	v_and_b32_e32 v16, 0x3ff, v0
	s_cselect_b32 s2, ttmp7, s3
	s_mov_b32 s31, 0
	v_lshl_add_u32 v4, s2, 5, v2
	v_cmp_ge_i64_e64 s2, s[28:29], s[26:27]
	s_delay_alu instid0(VALU_DEP_2)
	v_add_nc_u32_e32 v0, 16, v4
	v_cmp_gt_i32_e64 s3, s11, v4
	s_and_b32 vcc_lo, exec_lo, s2
	s_wait_kmcnt 0x0
	v_cmp_gt_i32_e64 s2, s10, v16
	v_cmp_gt_i32_e64 s4, s11, v0
	s_cbranch_vccnz .LBB54_27
; %bb.10:
	s_clause 0x1
	s_load_b128 s[12:15], s[0:1], 0x30
	s_load_b128 s[16:19], s[0:1], 0x48
	v_mul_lo_u32 v10, s10, v2
	v_dual_mov_b32 v11, 0 :: v_dual_ashrrev_i32 v5, 31, v4
	v_ashrrev_i32_e32 v1, 31, v0
	v_cmp_gt_i32_e32 vcc_lo, s10, v2
	v_lshl_add_u32 v21, v2, 2, 0x800
	v_dual_lshlrev_b32 v22, 6, v16 :: v_dual_lshlrev_b32 v17, 6, v2
	s_mul_i32 s30, s10, s10
	s_delay_alu instid0(VALU_DEP_1) | instskip(NEXT) | instid1(VALU_DEP_1)
	v_dual_lshlrev_b32 v20, 2, v16 :: v_dual_add_nc_u32 v21, v21, v22
	v_add_nc_u32_e32 v20, v20, v17
	s_wait_kmcnt 0x0
	v_lshl_add_u64 v[12:13], v[10:11], 1, s[14:15]
	v_lshlrev_b32_e32 v10, 1, v16
	v_mul_u64_e32 v[6:7], s[18:19], v[4:5]
	s_delay_alu instid0(VALU_DEP_2) | instskip(SKIP_1) | instid1(VALU_DEP_1)
	v_add_nc_u64_e32 v[12:13], v[12:13], v[10:11]
	v_mul_lo_u32 v10, s10, v16
	v_lshl_add_u64 v[14:15], v[10:11], 1, s[14:15]
	v_lshlrev_b32_e32 v10, 1, v2
	v_mul_u64_e32 v[8:9], s[18:19], v[0:1]
	s_and_b32 s14, s2, vcc_lo
	s_bitcmp1_b32 s8, 0
	v_mov_b64_e32 v[2:3], 0
	v_add_nc_u64_e32 v[10:11], v[14:15], v[10:11]
	s_cselect_b32 s5, -1, 0
	s_cmp_eq_u32 s9, 0
	s_cselect_b32 vcc_lo, -1, 0
	v_add_nc_u32_e32 v18, 0x800, v22
	s_delay_alu instid0(VALU_DEP_2) | instskip(NEXT) | instid1(VALU_DEP_3)
	v_dual_cndmask_b32 v10, v12, v10 :: v_dual_add_nc_u32 v19, 0x400, v17
	v_cndmask_b32_e32 v11, v13, v11, vcc_lo
	s_branch .LBB54_13
.LBB54_11:                              ;   in Loop: Header=BB54_13 Depth=1
	s_or_b32 exec_lo, exec_lo, s9
.LBB54_12:                              ;   in Loop: Header=BB54_13 Depth=1
	s_delay_alu instid0(SALU_CYCLE_1) | instskip(SKIP_1) | instid1(SALU_CYCLE_1)
	s_or_b32 exec_lo, exec_lo, s8
	s_add_nc_u64 s[28:29], s[28:29], 1
	v_cmp_ge_i64_e64 s8, s[28:29], s[26:27]
	s_barrier_signal -1
	s_barrier_wait -1
	s_and_b32 vcc_lo, exec_lo, s8
	s_cbranch_vccnz .LBB54_28
.LBB54_13:                              ; =>This Loop Header: Depth=1
                                        ;     Child Loop BB54_23 Depth 2
                                        ;     Child Loop BB54_26 Depth 2
	s_and_saveexec_b32 s8, s2
	s_cbranch_execz .LBB54_18
; %bb.14:                               ;   in Loop: Header=BB54_13 Depth=1
	s_lshl_b64 s[34:35], s[28:29], 2
	s_delay_alu instid0(SALU_CYCLE_1) | instskip(SKIP_3) | instid1(SALU_CYCLE_1)
	s_add_nc_u64 s[34:35], s[12:13], s[34:35]
	s_load_b32 s9, s[34:35], 0x0
	s_wait_kmcnt 0x0
	s_sub_co_i32 s9, s9, s21
	v_mad_u32 v14, s9, s10, v16
	s_delay_alu instid0(VALU_DEP_1) | instskip(NEXT) | instid1(VALU_DEP_1)
	v_ashrrev_i32_e32 v15, 31, v14
	v_mul_u64_e32 v[12:13], s[18:19], v[14:15]
	v_lshl_add_u64 v[14:15], v[14:15], 1, s[16:17]
	s_delay_alu instid0(VALU_DEP_2)
	v_lshl_add_u64 v[12:13], v[12:13], 1, s[16:17]
	s_and_saveexec_b32 s9, s3
	s_cbranch_execz .LBB54_16
; %bb.15:                               ;   in Loop: Header=BB54_13 Depth=1
	s_delay_alu instid0(VALU_DEP_1) | instskip(SKIP_1) | instid1(VALU_DEP_1)
	v_lshl_add_u64 v[22:23], v[4:5], 1, v[12:13]
	v_lshl_add_u64 v[24:25], v[6:7], 1, v[14:15]
	v_dual_cndmask_b32 v23, v23, v25, s5 :: v_dual_cndmask_b32 v22, v22, v24, s5
	global_load_u16 v22, v[22:23], off
	s_wait_loadcnt 0x0
	v_cvt_f32_f16_e32 v22, v22
	ds_store_b32 v20, v22
.LBB54_16:                              ;   in Loop: Header=BB54_13 Depth=1
	s_or_b32 exec_lo, exec_lo, s9
	s_delay_alu instid0(SALU_CYCLE_1)
	s_and_b32 exec_lo, exec_lo, s4
	s_cbranch_execz .LBB54_18
; %bb.17:                               ;   in Loop: Header=BB54_13 Depth=1
	v_lshl_add_u64 v[14:15], v[8:9], 1, v[14:15]
	v_lshl_add_u64 v[12:13], v[0:1], 1, v[12:13]
	s_delay_alu instid0(VALU_DEP_1)
	v_dual_cndmask_b32 v13, v13, v15, s5 :: v_dual_cndmask_b32 v12, v12, v14, s5
	global_load_u16 v12, v[12:13], off
	s_wait_loadcnt 0x0
	v_cvt_f32_f16_e32 v12, v12
	ds_store_b32 v20, v12 offset:1024
.LBB54_18:                              ;   in Loop: Header=BB54_13 Depth=1
	s_or_b32 exec_lo, exec_lo, s8
	s_and_saveexec_b32 s8, s14
	s_cbranch_execz .LBB54_20
; %bb.19:                               ;   in Loop: Header=BB54_13 Depth=1
	s_mul_u64 s[34:35], s[28:29], s[30:31]
	s_delay_alu instid0(SALU_CYCLE_1)
	v_lshl_add_u64 v[12:13], s[34:35], 1, v[10:11]
	global_load_u16 v12, v[12:13], off
	s_wait_loadcnt 0x0
	v_cvt_f32_f16_e32 v12, v12
	ds_store_b32 v21, v12
.LBB54_20:                              ;   in Loop: Header=BB54_13 Depth=1
	s_or_b32 exec_lo, exec_lo, s8
	s_wait_dscnt 0x0
	s_barrier_signal -1
	s_barrier_wait -1
	s_and_saveexec_b32 s8, s2
	s_cbranch_execz .LBB54_12
; %bb.21:                               ;   in Loop: Header=BB54_13 Depth=1
	s_and_saveexec_b32 s9, s3
	s_cbranch_execz .LBB54_24
; %bb.22:                               ;   in Loop: Header=BB54_13 Depth=1
	v_dual_mov_b32 v12, v18 :: v_dual_mov_b32 v13, v17
	s_mov_b32 s15, s10
.LBB54_23:                              ;   Parent Loop BB54_13 Depth=1
                                        ; =>  This Inner Loop Header: Depth=2
	ds_load_b32 v14, v12
	ds_load_b32 v15, v13
	v_dual_add_nc_u32 v13, 4, v13 :: v_dual_add_nc_u32 v12, 4, v12
	s_add_co_i32 s15, s15, -1
	s_delay_alu instid0(SALU_CYCLE_1)
	s_cmp_lg_u32 s15, 0
	s_wait_dscnt 0x0
	v_fma_f32 v2, v14, v15, v2
	s_cbranch_scc1 .LBB54_23
.LBB54_24:                              ;   in Loop: Header=BB54_13 Depth=1
	s_or_b32 exec_lo, exec_lo, s9
	s_and_saveexec_b32 s9, s4
	s_cbranch_execz .LBB54_11
; %bb.25:                               ;   in Loop: Header=BB54_13 Depth=1
	v_dual_mov_b32 v12, v18 :: v_dual_mov_b32 v13, v19
	s_mov_b32 s15, s10
.LBB54_26:                              ;   Parent Loop BB54_13 Depth=1
                                        ; =>  This Inner Loop Header: Depth=2
	ds_load_b32 v14, v12
	ds_load_b32 v15, v13
	v_dual_add_nc_u32 v13, 4, v13 :: v_dual_add_nc_u32 v12, 4, v12
	s_add_co_i32 s15, s15, -1
	s_delay_alu instid0(SALU_CYCLE_1)
	s_cmp_lg_u32 s15, 0
	s_wait_dscnt 0x0
	v_fma_f32 v3, v14, v15, v3
	s_cbranch_scc1 .LBB54_26
	s_branch .LBB54_11
.LBB54_27:
	v_mov_b64_e32 v[2:3], 0
.LBB54_28:
	s_load_b64 s[4:5], s[0:1], 0x68
	s_and_b32 s2, s7, s2
	s_delay_alu instid0(SALU_CYCLE_1)
	s_and_saveexec_b32 s3, s2
	s_cbranch_execz .LBB54_48
; %bb.29:
	s_load_b64 s[2:3], s[0:1], 0x70
	v_mad_u32 v6, s10, s22, v16
	s_cmp_neq_f32 s24, 0
	s_wait_xcnt 0x0
	s_mov_b32 s0, exec_lo
	s_cselect_b32 s7, -1, 0
	s_cmp_lg_u32 s20, 1
	s_cselect_b32 s1, -1, 0
	s_delay_alu instid0(VALU_DEP_1) | instskip(SKIP_1) | instid1(VALU_DEP_1)
	v_ashrrev_i32_e32 v7, 31, v6
	s_wait_kmcnt 0x0
	v_mul_u64_e32 v[8:9], s[2:3], v[6:7]
	v_lshl_add_u64 v[6:7], v[6:7], 2, s[4:5]
	s_delay_alu instid0(VALU_DEP_2)
	v_lshl_add_u64 v[8:9], v[8:9], 2, s[4:5]
	v_cmpx_gt_i32_e64 s11, v4
	s_cbranch_execz .LBB54_41
; %bb.30:
	v_ashrrev_i32_e32 v5, 31, v4
	s_and_b32 vcc_lo, exec_lo, s7
	s_cbranch_vccz .LBB54_36
; %bb.31:
	s_and_b32 vcc_lo, exec_lo, s1
	s_mov_b32 s4, -1
	s_cbranch_vccz .LBB54_33
; %bb.32:
	v_lshl_add_u64 v[10:11], v[4:5], 2, v[8:9]
	v_mul_f32_e32 v12, s6, v2
	s_mov_b32 s4, 0
	global_load_b32 v1, v[10:11], off
	s_wait_loadcnt 0x0
	v_fmac_f32_e32 v12, s24, v1
	global_store_b32 v[10:11], v12, off
.LBB54_33:
	s_and_not1_b32 vcc_lo, exec_lo, s4
	s_cbranch_vccnz .LBB54_35
; %bb.34:
	s_wait_xcnt 0x0
	v_mul_u64_e32 v[10:11], s[2:3], v[4:5]
	v_mul_f32_e32 v12, s6, v2
	s_delay_alu instid0(VALU_DEP_2)
	v_lshl_add_u64 v[10:11], v[10:11], 2, v[6:7]
	global_load_b32 v1, v[10:11], off
	s_wait_loadcnt 0x0
	v_fmac_f32_e32 v12, s24, v1
	global_store_b32 v[10:11], v12, off
.LBB54_35:
	s_cbranch_execz .LBB54_37
	s_branch .LBB54_41
.LBB54_36:
.LBB54_37:
	v_mul_f32_e32 v1, s6, v2
	s_and_b32 vcc_lo, exec_lo, s1
	s_mov_b32 s4, -1
	s_cbranch_vccz .LBB54_39
; %bb.38:
	s_wait_xcnt 0x0
	v_lshl_add_u64 v[10:11], v[4:5], 2, v[8:9]
	s_mov_b32 s4, 0
	global_store_b32 v[10:11], v1, off
.LBB54_39:
	s_and_not1_b32 vcc_lo, exec_lo, s4
	s_cbranch_vccnz .LBB54_41
; %bb.40:
	v_mul_u64_e32 v[4:5], s[2:3], v[4:5]
	s_delay_alu instid0(VALU_DEP_1)
	v_lshl_add_u64 v[4:5], v[4:5], 2, v[6:7]
	global_store_b32 v[4:5], v1, off
.LBB54_41:
	s_wait_xcnt 0x0
	s_or_b32 exec_lo, exec_lo, s0
	v_cmp_gt_i32_e32 vcc_lo, s11, v0
	s_and_b32 exec_lo, exec_lo, vcc_lo
	s_cbranch_execz .LBB54_48
; %bb.42:
	v_cndmask_b32_e64 v2, 0, 1, s1
	v_ashrrev_i32_e32 v1, 31, v0
	s_and_not1_b32 vcc_lo, exec_lo, s7
	s_delay_alu instid0(VALU_DEP_2)
	v_cmp_ne_u32_e64 s0, 1, v2
	s_cbranch_vccnz .LBB54_49
; %bb.43:
	s_and_b32 vcc_lo, exec_lo, s0
	s_mov_b32 s0, -1
	s_cbranch_vccnz .LBB54_45
; %bb.44:
	v_lshl_add_u64 v[4:5], v[0:1], 2, v[8:9]
	v_mul_f32_e32 v10, s6, v3
	s_mov_b32 s0, 0
	global_load_b32 v2, v[4:5], off
	s_wait_loadcnt 0x0
	v_fmac_f32_e32 v10, s24, v2
	global_store_b32 v[4:5], v10, off
.LBB54_45:
	s_and_not1_b32 vcc_lo, exec_lo, s0
	s_cbranch_vccnz .LBB54_47
; %bb.46:
	s_wait_xcnt 0x0
	v_mul_u64_e32 v[4:5], s[2:3], v[0:1]
	v_mul_f32_e32 v10, s6, v3
	s_delay_alu instid0(VALU_DEP_2)
	v_lshl_add_u64 v[4:5], v[4:5], 2, v[6:7]
	global_load_b32 v2, v[4:5], off
	s_wait_loadcnt 0x0
	v_fmac_f32_e32 v10, s24, v2
	global_store_b32 v[4:5], v10, off
.LBB54_47:
	s_cbranch_execz .LBB54_50
.LBB54_48:
	s_endpgm
.LBB54_49:
.LBB54_50:
	v_mul_f32_e32 v2, s6, v3
	s_and_not1_b32 vcc_lo, exec_lo, s1
	s_mov_b32 s0, -1
	s_cbranch_vccnz .LBB54_52
; %bb.51:
	s_wait_xcnt 0x0
	v_lshl_add_u64 v[4:5], v[0:1], 2, v[8:9]
	s_mov_b32 s0, 0
	global_store_b32 v[4:5], v2, off
.LBB54_52:
	s_and_not1_b32 vcc_lo, exec_lo, s0
	s_cbranch_vccnz .LBB54_48
; %bb.53:
	v_mul_u64_e32 v[0:1], s[2:3], v[0:1]
	s_delay_alu instid0(VALU_DEP_1)
	v_lshl_add_u64 v[0:1], v[0:1], 2, v[6:7]
	global_store_b32 v[0:1], v2, off
	s_endpgm
	.section	.rodata,"a",@progbits
	.p2align	6, 0x0
	.amdhsa_kernel _ZN9rocsparseL31bsrmm_large_blockdim_kernel_extILj16ELj16ELj2EliDF16_DF16_ffEEvb20rocsparse_direction_T3_S2_llNS_24const_host_device_scalarIT7_EEPKT2_PKS2_PKT4_S2_PKT5_llS5_PT6_ll16rocsparse_order_21rocsparse_index_base_b
		.amdhsa_group_segment_fixed_size 3072
		.amdhsa_private_segment_fixed_size 0
		.amdhsa_kernarg_size 140
		.amdhsa_user_sgpr_count 2
		.amdhsa_user_sgpr_dispatch_ptr 0
		.amdhsa_user_sgpr_queue_ptr 0
		.amdhsa_user_sgpr_kernarg_segment_ptr 1
		.amdhsa_user_sgpr_dispatch_id 0
		.amdhsa_user_sgpr_kernarg_preload_length 0
		.amdhsa_user_sgpr_kernarg_preload_offset 0
		.amdhsa_user_sgpr_private_segment_size 0
		.amdhsa_wavefront_size32 1
		.amdhsa_uses_dynamic_stack 0
		.amdhsa_enable_private_segment 0
		.amdhsa_system_sgpr_workgroup_id_x 1
		.amdhsa_system_sgpr_workgroup_id_y 1
		.amdhsa_system_sgpr_workgroup_id_z 0
		.amdhsa_system_sgpr_workgroup_info 0
		.amdhsa_system_vgpr_workitem_id 1
		.amdhsa_next_free_vgpr 26
		.amdhsa_next_free_sgpr 36
		.amdhsa_named_barrier_count 0
		.amdhsa_reserve_vcc 1
		.amdhsa_float_round_mode_32 0
		.amdhsa_float_round_mode_16_64 0
		.amdhsa_float_denorm_mode_32 3
		.amdhsa_float_denorm_mode_16_64 3
		.amdhsa_fp16_overflow 0
		.amdhsa_memory_ordered 1
		.amdhsa_forward_progress 1
		.amdhsa_inst_pref_size 14
		.amdhsa_round_robin_scheduling 0
		.amdhsa_exception_fp_ieee_invalid_op 0
		.amdhsa_exception_fp_denorm_src 0
		.amdhsa_exception_fp_ieee_div_zero 0
		.amdhsa_exception_fp_ieee_overflow 0
		.amdhsa_exception_fp_ieee_underflow 0
		.amdhsa_exception_fp_ieee_inexact 0
		.amdhsa_exception_int_div_zero 0
	.end_amdhsa_kernel
	.section	.text._ZN9rocsparseL31bsrmm_large_blockdim_kernel_extILj16ELj16ELj2EliDF16_DF16_ffEEvb20rocsparse_direction_T3_S2_llNS_24const_host_device_scalarIT7_EEPKT2_PKS2_PKT4_S2_PKT5_llS5_PT6_ll16rocsparse_order_21rocsparse_index_base_b,"axG",@progbits,_ZN9rocsparseL31bsrmm_large_blockdim_kernel_extILj16ELj16ELj2EliDF16_DF16_ffEEvb20rocsparse_direction_T3_S2_llNS_24const_host_device_scalarIT7_EEPKT2_PKS2_PKT4_S2_PKT5_llS5_PT6_ll16rocsparse_order_21rocsparse_index_base_b,comdat
.Lfunc_end54:
	.size	_ZN9rocsparseL31bsrmm_large_blockdim_kernel_extILj16ELj16ELj2EliDF16_DF16_ffEEvb20rocsparse_direction_T3_S2_llNS_24const_host_device_scalarIT7_EEPKT2_PKS2_PKT4_S2_PKT5_llS5_PT6_ll16rocsparse_order_21rocsparse_index_base_b, .Lfunc_end54-_ZN9rocsparseL31bsrmm_large_blockdim_kernel_extILj16ELj16ELj2EliDF16_DF16_ffEEvb20rocsparse_direction_T3_S2_llNS_24const_host_device_scalarIT7_EEPKT2_PKS2_PKT4_S2_PKT5_llS5_PT6_ll16rocsparse_order_21rocsparse_index_base_b
                                        ; -- End function
	.set _ZN9rocsparseL31bsrmm_large_blockdim_kernel_extILj16ELj16ELj2EliDF16_DF16_ffEEvb20rocsparse_direction_T3_S2_llNS_24const_host_device_scalarIT7_EEPKT2_PKS2_PKT4_S2_PKT5_llS5_PT6_ll16rocsparse_order_21rocsparse_index_base_b.num_vgpr, 26
	.set _ZN9rocsparseL31bsrmm_large_blockdim_kernel_extILj16ELj16ELj2EliDF16_DF16_ffEEvb20rocsparse_direction_T3_S2_llNS_24const_host_device_scalarIT7_EEPKT2_PKS2_PKT4_S2_PKT5_llS5_PT6_ll16rocsparse_order_21rocsparse_index_base_b.num_agpr, 0
	.set _ZN9rocsparseL31bsrmm_large_blockdim_kernel_extILj16ELj16ELj2EliDF16_DF16_ffEEvb20rocsparse_direction_T3_S2_llNS_24const_host_device_scalarIT7_EEPKT2_PKS2_PKT4_S2_PKT5_llS5_PT6_ll16rocsparse_order_21rocsparse_index_base_b.numbered_sgpr, 36
	.set _ZN9rocsparseL31bsrmm_large_blockdim_kernel_extILj16ELj16ELj2EliDF16_DF16_ffEEvb20rocsparse_direction_T3_S2_llNS_24const_host_device_scalarIT7_EEPKT2_PKS2_PKT4_S2_PKT5_llS5_PT6_ll16rocsparse_order_21rocsparse_index_base_b.num_named_barrier, 0
	.set _ZN9rocsparseL31bsrmm_large_blockdim_kernel_extILj16ELj16ELj2EliDF16_DF16_ffEEvb20rocsparse_direction_T3_S2_llNS_24const_host_device_scalarIT7_EEPKT2_PKS2_PKT4_S2_PKT5_llS5_PT6_ll16rocsparse_order_21rocsparse_index_base_b.private_seg_size, 0
	.set _ZN9rocsparseL31bsrmm_large_blockdim_kernel_extILj16ELj16ELj2EliDF16_DF16_ffEEvb20rocsparse_direction_T3_S2_llNS_24const_host_device_scalarIT7_EEPKT2_PKS2_PKT4_S2_PKT5_llS5_PT6_ll16rocsparse_order_21rocsparse_index_base_b.uses_vcc, 1
	.set _ZN9rocsparseL31bsrmm_large_blockdim_kernel_extILj16ELj16ELj2EliDF16_DF16_ffEEvb20rocsparse_direction_T3_S2_llNS_24const_host_device_scalarIT7_EEPKT2_PKS2_PKT4_S2_PKT5_llS5_PT6_ll16rocsparse_order_21rocsparse_index_base_b.uses_flat_scratch, 0
	.set _ZN9rocsparseL31bsrmm_large_blockdim_kernel_extILj16ELj16ELj2EliDF16_DF16_ffEEvb20rocsparse_direction_T3_S2_llNS_24const_host_device_scalarIT7_EEPKT2_PKS2_PKT4_S2_PKT5_llS5_PT6_ll16rocsparse_order_21rocsparse_index_base_b.has_dyn_sized_stack, 0
	.set _ZN9rocsparseL31bsrmm_large_blockdim_kernel_extILj16ELj16ELj2EliDF16_DF16_ffEEvb20rocsparse_direction_T3_S2_llNS_24const_host_device_scalarIT7_EEPKT2_PKS2_PKT4_S2_PKT5_llS5_PT6_ll16rocsparse_order_21rocsparse_index_base_b.has_recursion, 0
	.set _ZN9rocsparseL31bsrmm_large_blockdim_kernel_extILj16ELj16ELj2EliDF16_DF16_ffEEvb20rocsparse_direction_T3_S2_llNS_24const_host_device_scalarIT7_EEPKT2_PKS2_PKT4_S2_PKT5_llS5_PT6_ll16rocsparse_order_21rocsparse_index_base_b.has_indirect_call, 0
	.section	.AMDGPU.csdata,"",@progbits
; Kernel info:
; codeLenInByte = 1724
; TotalNumSgprs: 38
; NumVgprs: 26
; ScratchSize: 0
; MemoryBound: 0
; FloatMode: 240
; IeeeMode: 1
; LDSByteSize: 3072 bytes/workgroup (compile time only)
; SGPRBlocks: 0
; VGPRBlocks: 1
; NumSGPRsForWavesPerEU: 38
; NumVGPRsForWavesPerEU: 26
; NamedBarCnt: 0
; Occupancy: 16
; WaveLimiterHint : 1
; COMPUTE_PGM_RSRC2:SCRATCH_EN: 0
; COMPUTE_PGM_RSRC2:USER_SGPR: 2
; COMPUTE_PGM_RSRC2:TRAP_HANDLER: 0
; COMPUTE_PGM_RSRC2:TGID_X_EN: 1
; COMPUTE_PGM_RSRC2:TGID_Y_EN: 1
; COMPUTE_PGM_RSRC2:TGID_Z_EN: 0
; COMPUTE_PGM_RSRC2:TIDIG_COMP_CNT: 1
	.section	.text._ZN9rocsparseL31bsrmm_large_blockdim_kernel_extILj32ELj32ELj2EliDF16_DF16_ffEEvb20rocsparse_direction_T3_S2_llNS_24const_host_device_scalarIT7_EEPKT2_PKS2_PKT4_S2_PKT5_llS5_PT6_ll16rocsparse_order_21rocsparse_index_base_b,"axG",@progbits,_ZN9rocsparseL31bsrmm_large_blockdim_kernel_extILj32ELj32ELj2EliDF16_DF16_ffEEvb20rocsparse_direction_T3_S2_llNS_24const_host_device_scalarIT7_EEPKT2_PKS2_PKT4_S2_PKT5_llS5_PT6_ll16rocsparse_order_21rocsparse_index_base_b,comdat
	.globl	_ZN9rocsparseL31bsrmm_large_blockdim_kernel_extILj32ELj32ELj2EliDF16_DF16_ffEEvb20rocsparse_direction_T3_S2_llNS_24const_host_device_scalarIT7_EEPKT2_PKS2_PKT4_S2_PKT5_llS5_PT6_ll16rocsparse_order_21rocsparse_index_base_b ; -- Begin function _ZN9rocsparseL31bsrmm_large_blockdim_kernel_extILj32ELj32ELj2EliDF16_DF16_ffEEvb20rocsparse_direction_T3_S2_llNS_24const_host_device_scalarIT7_EEPKT2_PKS2_PKT4_S2_PKT5_llS5_PT6_ll16rocsparse_order_21rocsparse_index_base_b
	.p2align	8
	.type	_ZN9rocsparseL31bsrmm_large_blockdim_kernel_extILj32ELj32ELj2EliDF16_DF16_ffEEvb20rocsparse_direction_T3_S2_llNS_24const_host_device_scalarIT7_EEPKT2_PKS2_PKT4_S2_PKT5_llS5_PT6_ll16rocsparse_order_21rocsparse_index_base_b,@function
_ZN9rocsparseL31bsrmm_large_blockdim_kernel_extILj32ELj32ELj2EliDF16_DF16_ffEEvb20rocsparse_direction_T3_S2_llNS_24const_host_device_scalarIT7_EEPKT2_PKS2_PKT4_S2_PKT5_llS5_PT6_ll16rocsparse_order_21rocsparse_index_base_b: ; @_ZN9rocsparseL31bsrmm_large_blockdim_kernel_extILj32ELj32ELj2EliDF16_DF16_ffEEvb20rocsparse_direction_T3_S2_llNS_24const_host_device_scalarIT7_EEPKT2_PKS2_PKT4_S2_PKT5_llS5_PT6_ll16rocsparse_order_21rocsparse_index_base_b
; %bb.0:
	s_clause 0x2
	s_load_b96 s[20:22], s[0:1], 0x80
	s_load_b64 s[6:7], s[0:1], 0x20
	s_load_b64 s[24:25], s[0:1], 0x60
	s_wait_kmcnt 0x0
	s_bitcmp1_b32 s22, 0
	s_cselect_b32 s2, -1, 0
	s_delay_alu instid0(SALU_CYCLE_1)
	s_and_b32 vcc_lo, exec_lo, s2
	s_xor_b32 s2, s2, -1
	s_cbranch_vccnz .LBB55_2
; %bb.1:
	s_load_b32 s6, s[6:7], 0x0
.LBB55_2:
	s_and_not1_b32 vcc_lo, exec_lo, s2
	s_cbranch_vccnz .LBB55_4
; %bb.3:
	s_load_b32 s24, s[24:25], 0x0
.LBB55_4:
	s_wait_kmcnt 0x0
	s_cmp_eq_f32 s6, 0
	s_cselect_b32 s2, -1, 0
	s_cmp_eq_f32 s24, 1.0
	s_cselect_b32 s3, -1, 0
	s_delay_alu instid0(SALU_CYCLE_1) | instskip(NEXT) | instid1(SALU_CYCLE_1)
	s_and_b32 s2, s2, s3
	s_and_b32 vcc_lo, exec_lo, s2
	s_cbranch_vccnz .LBB55_48
; %bb.5:
	s_clause 0x1
	s_load_b128 s[8:11], s[0:1], 0x0
	s_load_b64 s[2:3], s[0:1], 0x28
	s_bfe_u32 s4, ttmp6, 0x4000c
	s_and_b32 s5, ttmp6, 15
	s_add_co_i32 s4, s4, 1
	s_mov_b64 s[26:27], 0
	s_mul_i32 s7, ttmp9, s4
	s_getreg_b32 s4, hwreg(HW_REG_IB_STS2, 6, 4)
	s_add_co_i32 s5, s5, s7
	s_cmp_eq_u32 s4, 0
	s_mov_b64 s[28:29], 0
	s_cselect_b32 s22, ttmp9, s5
	s_wait_kmcnt 0x0
	s_cmp_lt_i32 s22, s10
	s_cselect_b32 s7, -1, 0
	s_cmp_ge_i32 s22, s10
	s_cbranch_scc1 .LBB55_7
; %bb.6:
	s_ashr_i32 s23, s22, 31
	s_mov_b32 s15, 0
	s_lshl_b64 s[12:13], s[22:23], 3
	s_mov_b32 s14, s21
	s_add_nc_u64 s[12:13], s[2:3], s[12:13]
	s_load_b64 s[12:13], s[12:13], 0x0
	s_wait_kmcnt 0x0
	s_sub_nc_u64 s[28:29], s[12:13], s[14:15]
.LBB55_7:
	s_and_not1_b32 vcc_lo, exec_lo, s7
	s_cbranch_vccnz .LBB55_9
; %bb.8:
	s_ashr_i32 s23, s22, 31
	s_delay_alu instid0(SALU_CYCLE_1) | instskip(NEXT) | instid1(SALU_CYCLE_1)
	s_lshl_b64 s[12:13], s[22:23], 3
	s_add_nc_u64 s[2:3], s[2:3], s[12:13]
	s_mov_b32 s13, 0
	s_load_b64 s[2:3], s[2:3], 0x8
	s_mov_b32 s12, s21
	s_wait_kmcnt 0x0
	s_sub_nc_u64 s[26:27], s[2:3], s[12:13]
.LBB55_9:
	s_bfe_u32 s2, ttmp6, 0x40010
	s_load_b32 s10, s[0:1], 0x40
	s_add_co_i32 s2, s2, 1
	s_bfe_u32 s3, ttmp6, 0x40004
	s_mul_i32 s2, ttmp7, s2
	v_bfe_u32 v2, v0, 10, 10
	s_add_co_i32 s3, s3, s2
	s_cmp_eq_u32 s4, 0
	v_and_b32_e32 v16, 0x3ff, v0
	s_cselect_b32 s2, ttmp7, s3
	s_mov_b32 s31, 0
	v_lshl_add_u32 v4, s2, 6, v2
	v_cmp_ge_i64_e64 s2, s[28:29], s[26:27]
	s_delay_alu instid0(VALU_DEP_2)
	v_add_nc_u32_e32 v0, 32, v4
	v_cmp_gt_i32_e64 s3, s11, v4
	s_and_b32 vcc_lo, exec_lo, s2
	s_wait_kmcnt 0x0
	v_cmp_gt_i32_e64 s2, s10, v16
	v_cmp_gt_i32_e64 s4, s11, v0
	s_cbranch_vccnz .LBB55_27
; %bb.10:
	s_clause 0x1
	s_load_b128 s[12:15], s[0:1], 0x30
	s_load_b128 s[16:19], s[0:1], 0x48
	v_mul_lo_u32 v10, s10, v2
	v_dual_mov_b32 v11, 0 :: v_dual_ashrrev_i32 v5, 31, v4
	v_ashrrev_i32_e32 v1, 31, v0
	v_cmp_gt_i32_e32 vcc_lo, s10, v2
	v_lshl_or_b32 v21, v2, 2, 0x2000
	v_dual_lshlrev_b32 v22, 7, v16 :: v_dual_lshlrev_b32 v17, 7, v2
	s_mul_i32 s30, s10, s10
	s_delay_alu instid0(VALU_DEP_1) | instskip(NEXT) | instid1(VALU_DEP_1)
	v_dual_lshlrev_b32 v20, 2, v16 :: v_dual_add_nc_u32 v21, v21, v22
	v_add_nc_u32_e32 v20, v20, v17
	s_wait_kmcnt 0x0
	v_lshl_add_u64 v[12:13], v[10:11], 1, s[14:15]
	v_lshlrev_b32_e32 v10, 1, v16
	v_mul_u64_e32 v[6:7], s[18:19], v[4:5]
	s_delay_alu instid0(VALU_DEP_2) | instskip(SKIP_1) | instid1(VALU_DEP_1)
	v_add_nc_u64_e32 v[12:13], v[12:13], v[10:11]
	v_mul_lo_u32 v10, s10, v16
	v_lshl_add_u64 v[14:15], v[10:11], 1, s[14:15]
	v_lshlrev_b32_e32 v10, 1, v2
	v_mul_u64_e32 v[8:9], s[18:19], v[0:1]
	s_and_b32 s14, s2, vcc_lo
	s_bitcmp1_b32 s8, 0
	v_mov_b64_e32 v[2:3], 0
	v_add_nc_u64_e32 v[10:11], v[14:15], v[10:11]
	s_cselect_b32 s5, -1, 0
	s_cmp_eq_u32 s9, 0
	s_cselect_b32 vcc_lo, -1, 0
	v_add_nc_u32_e32 v18, 0x2000, v22
	s_delay_alu instid0(VALU_DEP_2) | instskip(NEXT) | instid1(VALU_DEP_3)
	v_dual_cndmask_b32 v10, v12, v10 :: v_dual_add_nc_u32 v19, 0x1000, v17
	v_cndmask_b32_e32 v11, v13, v11, vcc_lo
	s_branch .LBB55_13
.LBB55_11:                              ;   in Loop: Header=BB55_13 Depth=1
	s_or_b32 exec_lo, exec_lo, s9
.LBB55_12:                              ;   in Loop: Header=BB55_13 Depth=1
	s_delay_alu instid0(SALU_CYCLE_1) | instskip(SKIP_1) | instid1(SALU_CYCLE_1)
	s_or_b32 exec_lo, exec_lo, s8
	s_add_nc_u64 s[28:29], s[28:29], 1
	v_cmp_ge_i64_e64 s8, s[28:29], s[26:27]
	s_barrier_signal -1
	s_barrier_wait -1
	s_and_b32 vcc_lo, exec_lo, s8
	s_cbranch_vccnz .LBB55_28
.LBB55_13:                              ; =>This Loop Header: Depth=1
                                        ;     Child Loop BB55_23 Depth 2
                                        ;     Child Loop BB55_26 Depth 2
	s_and_saveexec_b32 s8, s2
	s_cbranch_execz .LBB55_18
; %bb.14:                               ;   in Loop: Header=BB55_13 Depth=1
	s_lshl_b64 s[34:35], s[28:29], 2
	s_delay_alu instid0(SALU_CYCLE_1) | instskip(SKIP_3) | instid1(SALU_CYCLE_1)
	s_add_nc_u64 s[34:35], s[12:13], s[34:35]
	s_load_b32 s9, s[34:35], 0x0
	s_wait_kmcnt 0x0
	s_sub_co_i32 s9, s9, s21
	v_mad_u32 v14, s9, s10, v16
	s_delay_alu instid0(VALU_DEP_1) | instskip(NEXT) | instid1(VALU_DEP_1)
	v_ashrrev_i32_e32 v15, 31, v14
	v_mul_u64_e32 v[12:13], s[18:19], v[14:15]
	v_lshl_add_u64 v[14:15], v[14:15], 1, s[16:17]
	s_delay_alu instid0(VALU_DEP_2)
	v_lshl_add_u64 v[12:13], v[12:13], 1, s[16:17]
	s_and_saveexec_b32 s9, s3
	s_cbranch_execz .LBB55_16
; %bb.15:                               ;   in Loop: Header=BB55_13 Depth=1
	s_delay_alu instid0(VALU_DEP_1) | instskip(SKIP_1) | instid1(VALU_DEP_1)
	v_lshl_add_u64 v[22:23], v[4:5], 1, v[12:13]
	v_lshl_add_u64 v[24:25], v[6:7], 1, v[14:15]
	v_dual_cndmask_b32 v23, v23, v25, s5 :: v_dual_cndmask_b32 v22, v22, v24, s5
	global_load_u16 v22, v[22:23], off
	s_wait_loadcnt 0x0
	v_cvt_f32_f16_e32 v22, v22
	ds_store_b32 v20, v22
.LBB55_16:                              ;   in Loop: Header=BB55_13 Depth=1
	s_or_b32 exec_lo, exec_lo, s9
	s_delay_alu instid0(SALU_CYCLE_1)
	s_and_b32 exec_lo, exec_lo, s4
	s_cbranch_execz .LBB55_18
; %bb.17:                               ;   in Loop: Header=BB55_13 Depth=1
	v_lshl_add_u64 v[14:15], v[8:9], 1, v[14:15]
	v_lshl_add_u64 v[12:13], v[0:1], 1, v[12:13]
	s_delay_alu instid0(VALU_DEP_1)
	v_dual_cndmask_b32 v13, v13, v15, s5 :: v_dual_cndmask_b32 v12, v12, v14, s5
	global_load_u16 v12, v[12:13], off
	s_wait_loadcnt 0x0
	v_cvt_f32_f16_e32 v12, v12
	ds_store_b32 v20, v12 offset:4096
.LBB55_18:                              ;   in Loop: Header=BB55_13 Depth=1
	s_or_b32 exec_lo, exec_lo, s8
	s_and_saveexec_b32 s8, s14
	s_cbranch_execz .LBB55_20
; %bb.19:                               ;   in Loop: Header=BB55_13 Depth=1
	s_mul_u64 s[34:35], s[28:29], s[30:31]
	s_delay_alu instid0(SALU_CYCLE_1)
	v_lshl_add_u64 v[12:13], s[34:35], 1, v[10:11]
	global_load_u16 v12, v[12:13], off
	s_wait_loadcnt 0x0
	v_cvt_f32_f16_e32 v12, v12
	ds_store_b32 v21, v12
.LBB55_20:                              ;   in Loop: Header=BB55_13 Depth=1
	s_or_b32 exec_lo, exec_lo, s8
	s_wait_dscnt 0x0
	s_barrier_signal -1
	s_barrier_wait -1
	s_and_saveexec_b32 s8, s2
	s_cbranch_execz .LBB55_12
; %bb.21:                               ;   in Loop: Header=BB55_13 Depth=1
	s_and_saveexec_b32 s9, s3
	s_cbranch_execz .LBB55_24
; %bb.22:                               ;   in Loop: Header=BB55_13 Depth=1
	v_dual_mov_b32 v12, v18 :: v_dual_mov_b32 v13, v17
	s_mov_b32 s15, s10
.LBB55_23:                              ;   Parent Loop BB55_13 Depth=1
                                        ; =>  This Inner Loop Header: Depth=2
	ds_load_b32 v14, v12
	ds_load_b32 v15, v13
	v_dual_add_nc_u32 v13, 4, v13 :: v_dual_add_nc_u32 v12, 4, v12
	s_add_co_i32 s15, s15, -1
	s_delay_alu instid0(SALU_CYCLE_1)
	s_cmp_lg_u32 s15, 0
	s_wait_dscnt 0x0
	v_fma_f32 v2, v14, v15, v2
	s_cbranch_scc1 .LBB55_23
.LBB55_24:                              ;   in Loop: Header=BB55_13 Depth=1
	s_or_b32 exec_lo, exec_lo, s9
	s_and_saveexec_b32 s9, s4
	s_cbranch_execz .LBB55_11
; %bb.25:                               ;   in Loop: Header=BB55_13 Depth=1
	v_dual_mov_b32 v12, v18 :: v_dual_mov_b32 v13, v19
	s_mov_b32 s15, s10
.LBB55_26:                              ;   Parent Loop BB55_13 Depth=1
                                        ; =>  This Inner Loop Header: Depth=2
	ds_load_b32 v14, v12
	ds_load_b32 v15, v13
	v_dual_add_nc_u32 v13, 4, v13 :: v_dual_add_nc_u32 v12, 4, v12
	s_add_co_i32 s15, s15, -1
	s_delay_alu instid0(SALU_CYCLE_1)
	s_cmp_lg_u32 s15, 0
	s_wait_dscnt 0x0
	v_fma_f32 v3, v14, v15, v3
	s_cbranch_scc1 .LBB55_26
	s_branch .LBB55_11
.LBB55_27:
	v_mov_b64_e32 v[2:3], 0
.LBB55_28:
	s_load_b64 s[4:5], s[0:1], 0x68
	s_and_b32 s2, s7, s2
	s_delay_alu instid0(SALU_CYCLE_1)
	s_and_saveexec_b32 s3, s2
	s_cbranch_execz .LBB55_48
; %bb.29:
	s_load_b64 s[2:3], s[0:1], 0x70
	v_mad_u32 v6, s10, s22, v16
	s_cmp_neq_f32 s24, 0
	s_wait_xcnt 0x0
	s_mov_b32 s0, exec_lo
	s_cselect_b32 s7, -1, 0
	s_cmp_lg_u32 s20, 1
	s_cselect_b32 s1, -1, 0
	s_delay_alu instid0(VALU_DEP_1) | instskip(SKIP_1) | instid1(VALU_DEP_1)
	v_ashrrev_i32_e32 v7, 31, v6
	s_wait_kmcnt 0x0
	v_mul_u64_e32 v[8:9], s[2:3], v[6:7]
	v_lshl_add_u64 v[6:7], v[6:7], 2, s[4:5]
	s_delay_alu instid0(VALU_DEP_2)
	v_lshl_add_u64 v[8:9], v[8:9], 2, s[4:5]
	v_cmpx_gt_i32_e64 s11, v4
	s_cbranch_execz .LBB55_41
; %bb.30:
	v_ashrrev_i32_e32 v5, 31, v4
	s_and_b32 vcc_lo, exec_lo, s7
	s_cbranch_vccz .LBB55_36
; %bb.31:
	s_and_b32 vcc_lo, exec_lo, s1
	s_mov_b32 s4, -1
	s_cbranch_vccz .LBB55_33
; %bb.32:
	v_lshl_add_u64 v[10:11], v[4:5], 2, v[8:9]
	v_mul_f32_e32 v12, s6, v2
	s_mov_b32 s4, 0
	global_load_b32 v1, v[10:11], off
	s_wait_loadcnt 0x0
	v_fmac_f32_e32 v12, s24, v1
	global_store_b32 v[10:11], v12, off
.LBB55_33:
	s_and_not1_b32 vcc_lo, exec_lo, s4
	s_cbranch_vccnz .LBB55_35
; %bb.34:
	s_wait_xcnt 0x0
	v_mul_u64_e32 v[10:11], s[2:3], v[4:5]
	v_mul_f32_e32 v12, s6, v2
	s_delay_alu instid0(VALU_DEP_2)
	v_lshl_add_u64 v[10:11], v[10:11], 2, v[6:7]
	global_load_b32 v1, v[10:11], off
	s_wait_loadcnt 0x0
	v_fmac_f32_e32 v12, s24, v1
	global_store_b32 v[10:11], v12, off
.LBB55_35:
	s_cbranch_execz .LBB55_37
	s_branch .LBB55_41
.LBB55_36:
.LBB55_37:
	v_mul_f32_e32 v1, s6, v2
	s_and_b32 vcc_lo, exec_lo, s1
	s_mov_b32 s4, -1
	s_cbranch_vccz .LBB55_39
; %bb.38:
	s_wait_xcnt 0x0
	v_lshl_add_u64 v[10:11], v[4:5], 2, v[8:9]
	s_mov_b32 s4, 0
	global_store_b32 v[10:11], v1, off
.LBB55_39:
	s_and_not1_b32 vcc_lo, exec_lo, s4
	s_cbranch_vccnz .LBB55_41
; %bb.40:
	v_mul_u64_e32 v[4:5], s[2:3], v[4:5]
	s_delay_alu instid0(VALU_DEP_1)
	v_lshl_add_u64 v[4:5], v[4:5], 2, v[6:7]
	global_store_b32 v[4:5], v1, off
.LBB55_41:
	s_wait_xcnt 0x0
	s_or_b32 exec_lo, exec_lo, s0
	v_cmp_gt_i32_e32 vcc_lo, s11, v0
	s_and_b32 exec_lo, exec_lo, vcc_lo
	s_cbranch_execz .LBB55_48
; %bb.42:
	v_cndmask_b32_e64 v2, 0, 1, s1
	v_ashrrev_i32_e32 v1, 31, v0
	s_and_not1_b32 vcc_lo, exec_lo, s7
	s_delay_alu instid0(VALU_DEP_2)
	v_cmp_ne_u32_e64 s0, 1, v2
	s_cbranch_vccnz .LBB55_49
; %bb.43:
	s_and_b32 vcc_lo, exec_lo, s0
	s_mov_b32 s0, -1
	s_cbranch_vccnz .LBB55_45
; %bb.44:
	v_lshl_add_u64 v[4:5], v[0:1], 2, v[8:9]
	v_mul_f32_e32 v10, s6, v3
	s_mov_b32 s0, 0
	global_load_b32 v2, v[4:5], off
	s_wait_loadcnt 0x0
	v_fmac_f32_e32 v10, s24, v2
	global_store_b32 v[4:5], v10, off
.LBB55_45:
	s_and_not1_b32 vcc_lo, exec_lo, s0
	s_cbranch_vccnz .LBB55_47
; %bb.46:
	s_wait_xcnt 0x0
	v_mul_u64_e32 v[4:5], s[2:3], v[0:1]
	v_mul_f32_e32 v10, s6, v3
	s_delay_alu instid0(VALU_DEP_2)
	v_lshl_add_u64 v[4:5], v[4:5], 2, v[6:7]
	global_load_b32 v2, v[4:5], off
	s_wait_loadcnt 0x0
	v_fmac_f32_e32 v10, s24, v2
	global_store_b32 v[4:5], v10, off
.LBB55_47:
	s_cbranch_execz .LBB55_50
.LBB55_48:
	s_endpgm
.LBB55_49:
.LBB55_50:
	v_mul_f32_e32 v2, s6, v3
	s_and_not1_b32 vcc_lo, exec_lo, s1
	s_mov_b32 s0, -1
	s_cbranch_vccnz .LBB55_52
; %bb.51:
	s_wait_xcnt 0x0
	v_lshl_add_u64 v[4:5], v[0:1], 2, v[8:9]
	s_mov_b32 s0, 0
	global_store_b32 v[4:5], v2, off
.LBB55_52:
	s_and_not1_b32 vcc_lo, exec_lo, s0
	s_cbranch_vccnz .LBB55_48
; %bb.53:
	v_mul_u64_e32 v[0:1], s[2:3], v[0:1]
	s_delay_alu instid0(VALU_DEP_1)
	v_lshl_add_u64 v[0:1], v[0:1], 2, v[6:7]
	global_store_b32 v[0:1], v2, off
	s_endpgm
	.section	.rodata,"a",@progbits
	.p2align	6, 0x0
	.amdhsa_kernel _ZN9rocsparseL31bsrmm_large_blockdim_kernel_extILj32ELj32ELj2EliDF16_DF16_ffEEvb20rocsparse_direction_T3_S2_llNS_24const_host_device_scalarIT7_EEPKT2_PKS2_PKT4_S2_PKT5_llS5_PT6_ll16rocsparse_order_21rocsparse_index_base_b
		.amdhsa_group_segment_fixed_size 12288
		.amdhsa_private_segment_fixed_size 0
		.amdhsa_kernarg_size 140
		.amdhsa_user_sgpr_count 2
		.amdhsa_user_sgpr_dispatch_ptr 0
		.amdhsa_user_sgpr_queue_ptr 0
		.amdhsa_user_sgpr_kernarg_segment_ptr 1
		.amdhsa_user_sgpr_dispatch_id 0
		.amdhsa_user_sgpr_kernarg_preload_length 0
		.amdhsa_user_sgpr_kernarg_preload_offset 0
		.amdhsa_user_sgpr_private_segment_size 0
		.amdhsa_wavefront_size32 1
		.amdhsa_uses_dynamic_stack 0
		.amdhsa_enable_private_segment 0
		.amdhsa_system_sgpr_workgroup_id_x 1
		.amdhsa_system_sgpr_workgroup_id_y 1
		.amdhsa_system_sgpr_workgroup_id_z 0
		.amdhsa_system_sgpr_workgroup_info 0
		.amdhsa_system_vgpr_workitem_id 1
		.amdhsa_next_free_vgpr 26
		.amdhsa_next_free_sgpr 36
		.amdhsa_named_barrier_count 0
		.amdhsa_reserve_vcc 1
		.amdhsa_float_round_mode_32 0
		.amdhsa_float_round_mode_16_64 0
		.amdhsa_float_denorm_mode_32 3
		.amdhsa_float_denorm_mode_16_64 3
		.amdhsa_fp16_overflow 0
		.amdhsa_memory_ordered 1
		.amdhsa_forward_progress 1
		.amdhsa_inst_pref_size 14
		.amdhsa_round_robin_scheduling 0
		.amdhsa_exception_fp_ieee_invalid_op 0
		.amdhsa_exception_fp_denorm_src 0
		.amdhsa_exception_fp_ieee_div_zero 0
		.amdhsa_exception_fp_ieee_overflow 0
		.amdhsa_exception_fp_ieee_underflow 0
		.amdhsa_exception_fp_ieee_inexact 0
		.amdhsa_exception_int_div_zero 0
	.end_amdhsa_kernel
	.section	.text._ZN9rocsparseL31bsrmm_large_blockdim_kernel_extILj32ELj32ELj2EliDF16_DF16_ffEEvb20rocsparse_direction_T3_S2_llNS_24const_host_device_scalarIT7_EEPKT2_PKS2_PKT4_S2_PKT5_llS5_PT6_ll16rocsparse_order_21rocsparse_index_base_b,"axG",@progbits,_ZN9rocsparseL31bsrmm_large_blockdim_kernel_extILj32ELj32ELj2EliDF16_DF16_ffEEvb20rocsparse_direction_T3_S2_llNS_24const_host_device_scalarIT7_EEPKT2_PKS2_PKT4_S2_PKT5_llS5_PT6_ll16rocsparse_order_21rocsparse_index_base_b,comdat
.Lfunc_end55:
	.size	_ZN9rocsparseL31bsrmm_large_blockdim_kernel_extILj32ELj32ELj2EliDF16_DF16_ffEEvb20rocsparse_direction_T3_S2_llNS_24const_host_device_scalarIT7_EEPKT2_PKS2_PKT4_S2_PKT5_llS5_PT6_ll16rocsparse_order_21rocsparse_index_base_b, .Lfunc_end55-_ZN9rocsparseL31bsrmm_large_blockdim_kernel_extILj32ELj32ELj2EliDF16_DF16_ffEEvb20rocsparse_direction_T3_S2_llNS_24const_host_device_scalarIT7_EEPKT2_PKS2_PKT4_S2_PKT5_llS5_PT6_ll16rocsparse_order_21rocsparse_index_base_b
                                        ; -- End function
	.set _ZN9rocsparseL31bsrmm_large_blockdim_kernel_extILj32ELj32ELj2EliDF16_DF16_ffEEvb20rocsparse_direction_T3_S2_llNS_24const_host_device_scalarIT7_EEPKT2_PKS2_PKT4_S2_PKT5_llS5_PT6_ll16rocsparse_order_21rocsparse_index_base_b.num_vgpr, 26
	.set _ZN9rocsparseL31bsrmm_large_blockdim_kernel_extILj32ELj32ELj2EliDF16_DF16_ffEEvb20rocsparse_direction_T3_S2_llNS_24const_host_device_scalarIT7_EEPKT2_PKS2_PKT4_S2_PKT5_llS5_PT6_ll16rocsparse_order_21rocsparse_index_base_b.num_agpr, 0
	.set _ZN9rocsparseL31bsrmm_large_blockdim_kernel_extILj32ELj32ELj2EliDF16_DF16_ffEEvb20rocsparse_direction_T3_S2_llNS_24const_host_device_scalarIT7_EEPKT2_PKS2_PKT4_S2_PKT5_llS5_PT6_ll16rocsparse_order_21rocsparse_index_base_b.numbered_sgpr, 36
	.set _ZN9rocsparseL31bsrmm_large_blockdim_kernel_extILj32ELj32ELj2EliDF16_DF16_ffEEvb20rocsparse_direction_T3_S2_llNS_24const_host_device_scalarIT7_EEPKT2_PKS2_PKT4_S2_PKT5_llS5_PT6_ll16rocsparse_order_21rocsparse_index_base_b.num_named_barrier, 0
	.set _ZN9rocsparseL31bsrmm_large_blockdim_kernel_extILj32ELj32ELj2EliDF16_DF16_ffEEvb20rocsparse_direction_T3_S2_llNS_24const_host_device_scalarIT7_EEPKT2_PKS2_PKT4_S2_PKT5_llS5_PT6_ll16rocsparse_order_21rocsparse_index_base_b.private_seg_size, 0
	.set _ZN9rocsparseL31bsrmm_large_blockdim_kernel_extILj32ELj32ELj2EliDF16_DF16_ffEEvb20rocsparse_direction_T3_S2_llNS_24const_host_device_scalarIT7_EEPKT2_PKS2_PKT4_S2_PKT5_llS5_PT6_ll16rocsparse_order_21rocsparse_index_base_b.uses_vcc, 1
	.set _ZN9rocsparseL31bsrmm_large_blockdim_kernel_extILj32ELj32ELj2EliDF16_DF16_ffEEvb20rocsparse_direction_T3_S2_llNS_24const_host_device_scalarIT7_EEPKT2_PKS2_PKT4_S2_PKT5_llS5_PT6_ll16rocsparse_order_21rocsparse_index_base_b.uses_flat_scratch, 0
	.set _ZN9rocsparseL31bsrmm_large_blockdim_kernel_extILj32ELj32ELj2EliDF16_DF16_ffEEvb20rocsparse_direction_T3_S2_llNS_24const_host_device_scalarIT7_EEPKT2_PKS2_PKT4_S2_PKT5_llS5_PT6_ll16rocsparse_order_21rocsparse_index_base_b.has_dyn_sized_stack, 0
	.set _ZN9rocsparseL31bsrmm_large_blockdim_kernel_extILj32ELj32ELj2EliDF16_DF16_ffEEvb20rocsparse_direction_T3_S2_llNS_24const_host_device_scalarIT7_EEPKT2_PKS2_PKT4_S2_PKT5_llS5_PT6_ll16rocsparse_order_21rocsparse_index_base_b.has_recursion, 0
	.set _ZN9rocsparseL31bsrmm_large_blockdim_kernel_extILj32ELj32ELj2EliDF16_DF16_ffEEvb20rocsparse_direction_T3_S2_llNS_24const_host_device_scalarIT7_EEPKT2_PKS2_PKT4_S2_PKT5_llS5_PT6_ll16rocsparse_order_21rocsparse_index_base_b.has_indirect_call, 0
	.section	.AMDGPU.csdata,"",@progbits
; Kernel info:
; codeLenInByte = 1724
; TotalNumSgprs: 38
; NumVgprs: 26
; ScratchSize: 0
; MemoryBound: 0
; FloatMode: 240
; IeeeMode: 1
; LDSByteSize: 12288 bytes/workgroup (compile time only)
; SGPRBlocks: 0
; VGPRBlocks: 1
; NumSGPRsForWavesPerEU: 38
; NumVGPRsForWavesPerEU: 26
; NamedBarCnt: 0
; Occupancy: 16
; WaveLimiterHint : 1
; COMPUTE_PGM_RSRC2:SCRATCH_EN: 0
; COMPUTE_PGM_RSRC2:USER_SGPR: 2
; COMPUTE_PGM_RSRC2:TRAP_HANDLER: 0
; COMPUTE_PGM_RSRC2:TGID_X_EN: 1
; COMPUTE_PGM_RSRC2:TGID_Y_EN: 1
; COMPUTE_PGM_RSRC2:TGID_Z_EN: 0
; COMPUTE_PGM_RSRC2:TIDIG_COMP_CNT: 1
	.section	.text._ZN9rocsparseL31bsrmm_large_blockdim_kernel_extILj8ELj8ELj2EllDF16_DF16_ffEEvb20rocsparse_direction_T3_S2_llNS_24const_host_device_scalarIT7_EEPKT2_PKS2_PKT4_S2_PKT5_llS5_PT6_ll16rocsparse_order_21rocsparse_index_base_b,"axG",@progbits,_ZN9rocsparseL31bsrmm_large_blockdim_kernel_extILj8ELj8ELj2EllDF16_DF16_ffEEvb20rocsparse_direction_T3_S2_llNS_24const_host_device_scalarIT7_EEPKT2_PKS2_PKT4_S2_PKT5_llS5_PT6_ll16rocsparse_order_21rocsparse_index_base_b,comdat
	.globl	_ZN9rocsparseL31bsrmm_large_blockdim_kernel_extILj8ELj8ELj2EllDF16_DF16_ffEEvb20rocsparse_direction_T3_S2_llNS_24const_host_device_scalarIT7_EEPKT2_PKS2_PKT4_S2_PKT5_llS5_PT6_ll16rocsparse_order_21rocsparse_index_base_b ; -- Begin function _ZN9rocsparseL31bsrmm_large_blockdim_kernel_extILj8ELj8ELj2EllDF16_DF16_ffEEvb20rocsparse_direction_T3_S2_llNS_24const_host_device_scalarIT7_EEPKT2_PKS2_PKT4_S2_PKT5_llS5_PT6_ll16rocsparse_order_21rocsparse_index_base_b
	.p2align	8
	.type	_ZN9rocsparseL31bsrmm_large_blockdim_kernel_extILj8ELj8ELj2EllDF16_DF16_ffEEvb20rocsparse_direction_T3_S2_llNS_24const_host_device_scalarIT7_EEPKT2_PKS2_PKT4_S2_PKT5_llS5_PT6_ll16rocsparse_order_21rocsparse_index_base_b,@function
_ZN9rocsparseL31bsrmm_large_blockdim_kernel_extILj8ELj8ELj2EllDF16_DF16_ffEEvb20rocsparse_direction_T3_S2_llNS_24const_host_device_scalarIT7_EEPKT2_PKS2_PKT4_S2_PKT5_llS5_PT6_ll16rocsparse_order_21rocsparse_index_base_b: ; @_ZN9rocsparseL31bsrmm_large_blockdim_kernel_extILj8ELj8ELj2EllDF16_DF16_ffEEvb20rocsparse_direction_T3_S2_llNS_24const_host_device_scalarIT7_EEPKT2_PKS2_PKT4_S2_PKT5_llS5_PT6_ll16rocsparse_order_21rocsparse_index_base_b
; %bb.0:
	s_clause 0x2
	s_load_b96 s[16:18], s[0:1], 0x88
	s_load_b64 s[20:21], s[0:1], 0x28
	s_load_b64 s[22:23], s[0:1], 0x68
	s_wait_kmcnt 0x0
	s_bitcmp1_b32 s18, 0
	s_cselect_b32 s2, -1, 0
	s_delay_alu instid0(SALU_CYCLE_1)
	s_and_b32 vcc_lo, exec_lo, s2
	s_xor_b32 s2, s2, -1
	s_cbranch_vccnz .LBB56_2
; %bb.1:
	s_load_b32 s20, s[20:21], 0x0
.LBB56_2:
	s_and_not1_b32 vcc_lo, exec_lo, s2
	s_cbranch_vccnz .LBB56_4
; %bb.3:
	s_load_b32 s22, s[22:23], 0x0
.LBB56_4:
	s_wait_kmcnt 0x0
	s_cmp_eq_f32 s20, 0
	s_cselect_b32 s2, -1, 0
	s_cmp_eq_f32 s22, 1.0
	s_cselect_b32 s3, -1, 0
	s_delay_alu instid0(SALU_CYCLE_1) | instskip(NEXT) | instid1(SALU_CYCLE_1)
	s_and_b32 s2, s2, s3
	s_and_b32 vcc_lo, exec_lo, s2
	s_cbranch_vccnz .LBB56_48
; %bb.5:
	s_clause 0x1
	s_load_b128 s[4:7], s[0:1], 0x8
	s_load_b64 s[2:3], s[0:1], 0x30
	s_bfe_u32 s8, ttmp6, 0x4000c
	s_and_b32 s9, ttmp6, 15
	s_add_co_i32 s8, s8, 1
	s_mov_b64 s[24:25], 0
	s_mul_i32 s10, ttmp9, s8
	s_getreg_b32 s8, hwreg(HW_REG_IB_STS2, 6, 4)
	s_add_co_i32 s9, s9, s10
	s_cmp_eq_u32 s8, 0
	s_mov_b64 s[26:27], 0
	s_cselect_b32 s18, ttmp9, s9
	s_delay_alu instid0(SALU_CYCLE_1)
	s_ashr_i32 s19, s18, 31
	s_wait_kmcnt 0x0
	v_cmp_le_i64_e64 s9, s[4:5], s[18:19]
	v_cmp_gt_i64_e64 s21, s[4:5], s[18:19]
	s_and_b32 vcc_lo, exec_lo, s9
	s_cbranch_vccnz .LBB56_7
; %bb.6:
	s_lshl_b64 s[4:5], s[18:19], 3
	s_mov_b32 s11, 0
	s_add_nc_u64 s[4:5], s[2:3], s[4:5]
	s_mov_b32 s10, s17
	s_load_b64 s[4:5], s[4:5], 0x0
	s_wait_kmcnt 0x0
	s_sub_nc_u64 s[26:27], s[4:5], s[10:11]
.LBB56_7:
	s_and_not1_b32 vcc_lo, exec_lo, s21
	s_cbranch_vccnz .LBB56_9
; %bb.8:
	s_lshl_b64 s[4:5], s[18:19], 3
	s_delay_alu instid0(SALU_CYCLE_1)
	s_add_nc_u64 s[2:3], s[2:3], s[4:5]
	s_mov_b32 s5, 0
	s_load_b64 s[2:3], s[2:3], 0x8
	s_mov_b32 s4, s17
	s_wait_kmcnt 0x0
	s_sub_nc_u64 s[24:25], s[2:3], s[4:5]
.LBB56_9:
	s_bfe_u32 s2, ttmp6, 0x40010
	s_clause 0x1
	s_load_b64 s[28:29], s[0:1], 0x48
	s_load_b64 s[30:31], s[0:1], 0x70
	s_add_co_i32 s2, s2, 1
	s_bfe_u32 s3, ttmp6, 0x40004
	s_mul_i32 s2, ttmp7, s2
	v_bfe_u32 v4, v0, 10, 10
	s_add_co_i32 s3, s3, s2
	s_cmp_eq_u32 s8, 0
	v_and_b32_e32 v6, 0x3ff, v0
	s_cselect_b32 s2, ttmp7, s3
	v_cmp_ge_i64_e64 s5, s[26:27], s[24:25]
	v_lshl_add_u32 v2, s2, 4, v4
	v_mov_b32_e32 v3, 0
	s_mov_b32 s35, 0
	s_delay_alu instid0(VALU_DEP_1)
	v_dual_mov_b32 v7, v3 :: v_dual_add_nc_u32 v0, 8, v2
	v_mov_b32_e32 v1, v3
	v_cmp_gt_i64_e64 s3, s[6:7], v[2:3]
	s_and_b32 vcc_lo, exec_lo, s5
	s_wait_kmcnt 0x0
	v_cmp_gt_i64_e64 s2, s[28:29], v[6:7]
	v_cmp_gt_i64_e64 s4, s[6:7], v[0:1]
	s_cbranch_vccnz .LBB56_27
; %bb.10:
	v_dual_mov_b32 v5, v3 :: v_dual_lshlrev_b32 v23, 2, v6
	s_load_b128 s[8:11], s[0:1], 0x50
	v_mul_u64_e32 v[12:13], s[28:29], v[6:7]
	s_clause 0x1
	s_load_b128 s[12:15], s[0:1], 0x38
	s_load_b64 s[38:39], s[0:1], 0x0
	v_mul_u64_e32 v[14:15], s[28:29], v[4:5]
	v_cmp_gt_i64_e32 vcc_lo, s[28:29], v[4:5]
	v_dual_mov_b32 v17, v3 :: v_dual_lshlrev_b32 v16, 1, v6
	v_dual_mov_b32 v19, v3 :: v_dual_lshlrev_b32 v18, 1, v4
	v_lshl_add_u32 v24, v4, 2, 0x200
	v_dual_lshlrev_b32 v20, 5, v4 :: v_dual_lshlrev_b32 v25, 5, v6
	s_and_b32 s19, s2, vcc_lo
	v_cmp_gt_i64_e64 s23, s[28:29], 0
	v_mov_b64_e32 v[4:5], 0
	s_delay_alu instid0(VALU_DEP_3)
	v_dual_add_nc_u32 v23, v23, v20 :: v_dual_add_nc_u32 v24, v24, v25
	s_mul_u64 s[36:37], s[28:29], s[28:29]
	s_mov_b32 s34, s17
	s_wait_kmcnt 0x0
	v_mul_u64_e32 v[8:9], s[10:11], v[2:3]
	v_mul_u64_e32 v[10:11], s[10:11], v[0:1]
	s_bitcmp1_b32 s38, 0
	s_cselect_b32 s5, -1, 0
	s_cmp_eq_u32 s39, 0
	s_cselect_b32 vcc_lo, -1, 0
	s_and_b32 s17, s3, s23
	s_and_b32 s23, s4, s23
	v_lshl_add_u64 v[12:13], v[12:13], 1, s[14:15]
	v_lshl_add_u64 v[14:15], v[14:15], 1, s[14:15]
	s_delay_alu instid0(VALU_DEP_2) | instskip(SKIP_1) | instid1(VALU_DEP_3)
	v_add_nc_u64_e32 v[18:19], v[12:13], v[18:19]
	v_add_nc_u64_e32 v[12:13], s[8:9], v[16:17]
	;; [unrolled: 1-line block ×3, first 2 shown]
	v_add_nc_u32_e32 v21, 0x200, v25
	s_delay_alu instid0(VALU_DEP_2) | instskip(NEXT) | instid1(VALU_DEP_3)
	v_dual_cndmask_b32 v15, v15, v19 :: v_dual_add_nc_u32 v22, 0x100, v20
	v_cndmask_b32_e32 v14, v14, v18, vcc_lo
	s_branch .LBB56_13
.LBB56_11:                              ;   in Loop: Header=BB56_13 Depth=1
	s_or_b32 exec_lo, exec_lo, s38
.LBB56_12:                              ;   in Loop: Header=BB56_13 Depth=1
	s_delay_alu instid0(SALU_CYCLE_1) | instskip(SKIP_1) | instid1(SALU_CYCLE_1)
	s_or_b32 exec_lo, exec_lo, s33
	s_add_nc_u64 s[26:27], s[26:27], 1
	v_cmp_ge_i64_e64 s14, s[26:27], s[24:25]
	s_barrier_signal -1
	s_barrier_wait -1
	s_and_b32 vcc_lo, exec_lo, s14
	s_cbranch_vccnz .LBB56_28
.LBB56_13:                              ; =>This Loop Header: Depth=1
                                        ;     Child Loop BB56_23 Depth 2
                                        ;     Child Loop BB56_26 Depth 2
	s_and_saveexec_b32 s14, s2
	s_cbranch_execz .LBB56_18
; %bb.14:                               ;   in Loop: Header=BB56_13 Depth=1
	s_lshl_b64 s[38:39], s[26:27], 3
	s_delay_alu instid0(SALU_CYCLE_1) | instskip(SKIP_3) | instid1(SALU_CYCLE_1)
	s_add_nc_u64 s[38:39], s[12:13], s[38:39]
	s_load_b64 s[38:39], s[38:39], 0x0
	s_wait_kmcnt 0x0
	s_sub_nc_u64 s[38:39], s[38:39], s[34:35]
	s_mul_u64 s[38:39], s[38:39], s[28:29]
	s_delay_alu instid0(SALU_CYCLE_1) | instskip(SKIP_1) | instid1(VALU_DEP_2)
	v_add_nc_u64_e32 v[16:17], s[38:39], v[6:7]
	v_lshl_add_u64 v[18:19], s[38:39], 1, v[12:13]
	v_mul_u64_e32 v[16:17], s[10:11], v[16:17]
	s_delay_alu instid0(VALU_DEP_1)
	v_lshl_add_u64 v[16:17], v[16:17], 1, s[8:9]
	s_and_saveexec_b32 s15, s3
	s_cbranch_execz .LBB56_16
; %bb.15:                               ;   in Loop: Header=BB56_13 Depth=1
	s_delay_alu instid0(VALU_DEP_1) | instskip(SKIP_1) | instid1(VALU_DEP_1)
	v_lshl_add_u64 v[26:27], v[2:3], 1, v[16:17]
	v_lshl_add_u64 v[28:29], v[8:9], 1, v[18:19]
	v_dual_cndmask_b32 v27, v27, v29, s5 :: v_dual_cndmask_b32 v26, v26, v28, s5
	global_load_u16 v25, v[26:27], off
	s_wait_loadcnt 0x0
	v_cvt_f32_f16_e32 v25, v25
	ds_store_b32 v23, v25
.LBB56_16:                              ;   in Loop: Header=BB56_13 Depth=1
	s_or_b32 exec_lo, exec_lo, s15
	s_delay_alu instid0(SALU_CYCLE_1)
	s_and_b32 exec_lo, exec_lo, s4
	s_cbranch_execz .LBB56_18
; %bb.17:                               ;   in Loop: Header=BB56_13 Depth=1
	v_lshl_add_u64 v[18:19], v[10:11], 1, v[18:19]
	v_lshl_add_u64 v[16:17], v[0:1], 1, v[16:17]
	s_delay_alu instid0(VALU_DEP_1)
	v_dual_cndmask_b32 v17, v17, v19, s5 :: v_dual_cndmask_b32 v16, v16, v18, s5
	global_load_u16 v16, v[16:17], off
	s_wait_loadcnt 0x0
	v_cvt_f32_f16_e32 v16, v16
	ds_store_b32 v23, v16 offset:256
.LBB56_18:                              ;   in Loop: Header=BB56_13 Depth=1
	s_or_b32 exec_lo, exec_lo, s14
	s_and_saveexec_b32 s14, s19
	s_cbranch_execz .LBB56_20
; %bb.19:                               ;   in Loop: Header=BB56_13 Depth=1
	s_mul_u64 s[38:39], s[36:37], s[26:27]
	s_delay_alu instid0(SALU_CYCLE_1)
	v_lshl_add_u64 v[16:17], s[38:39], 1, v[14:15]
	global_load_u16 v16, v[16:17], off
	s_wait_loadcnt 0x0
	v_cvt_f32_f16_e32 v16, v16
	ds_store_b32 v24, v16
.LBB56_20:                              ;   in Loop: Header=BB56_13 Depth=1
	s_or_b32 exec_lo, exec_lo, s14
	s_wait_dscnt 0x0
	s_barrier_signal -1
	s_barrier_wait -1
	s_and_saveexec_b32 s33, s2
	s_cbranch_execz .LBB56_12
; %bb.21:                               ;   in Loop: Header=BB56_13 Depth=1
	s_and_saveexec_b32 s38, s17
	s_cbranch_execz .LBB56_24
; %bb.22:                               ;   in Loop: Header=BB56_13 Depth=1
	v_dual_mov_b32 v16, v21 :: v_dual_mov_b32 v17, v20
	s_mov_b64 s[14:15], s[28:29]
.LBB56_23:                              ;   Parent Loop BB56_13 Depth=1
                                        ; =>  This Inner Loop Header: Depth=2
	ds_load_b32 v18, v16
	ds_load_b32 v19, v17
	v_dual_add_nc_u32 v17, 4, v17 :: v_dual_add_nc_u32 v16, 4, v16
	s_add_nc_u64 s[14:15], s[14:15], -1
	s_delay_alu instid0(SALU_CYCLE_1)
	s_cmp_lg_u64 s[14:15], 0
	s_wait_dscnt 0x0
	v_fma_f32 v4, v18, v19, v4
	s_cbranch_scc1 .LBB56_23
.LBB56_24:                              ;   in Loop: Header=BB56_13 Depth=1
	s_or_b32 exec_lo, exec_lo, s38
	s_and_saveexec_b32 s38, s23
	s_cbranch_execz .LBB56_11
; %bb.25:                               ;   in Loop: Header=BB56_13 Depth=1
	v_dual_mov_b32 v16, v21 :: v_dual_mov_b32 v17, v22
	s_mov_b64 s[14:15], s[28:29]
.LBB56_26:                              ;   Parent Loop BB56_13 Depth=1
                                        ; =>  This Inner Loop Header: Depth=2
	ds_load_b32 v18, v16
	ds_load_b32 v19, v17
	v_dual_add_nc_u32 v17, 4, v17 :: v_dual_add_nc_u32 v16, 4, v16
	s_add_nc_u64 s[14:15], s[14:15], -1
	s_delay_alu instid0(SALU_CYCLE_1)
	s_cmp_lg_u64 s[14:15], 0
	s_wait_dscnt 0x0
	v_fma_f32 v5, v18, v19, v5
	s_cbranch_scc1 .LBB56_26
	s_branch .LBB56_11
.LBB56_27:
	v_mov_b64_e32 v[4:5], 0
.LBB56_28:
	s_and_b32 s2, s21, s2
	s_delay_alu instid0(SALU_CYCLE_1)
	s_and_saveexec_b32 s3, s2
	s_cbranch_execz .LBB56_48
; %bb.29:
	v_mad_nc_u64_u32 v[6:7], s28, s18, v[6:7]
	s_load_b64 s[2:3], s[0:1], 0x78
	s_cmp_neq_f32 s22, 0
	s_wait_xcnt 0x0
	s_mov_b32 s0, exec_lo
	s_cselect_b32 s4, -1, 0
	s_cmp_lg_u32 s16, 1
	s_cselect_b32 s1, -1, 0
	s_delay_alu instid0(VALU_DEP_1) | instskip(SKIP_1) | instid1(VALU_DEP_1)
	v_mad_u32 v7, s29, s18, v7
	s_wait_kmcnt 0x0
	v_mul_u64_e32 v[8:9], s[2:3], v[6:7]
	v_lshl_add_u64 v[6:7], v[6:7], 2, s[30:31]
	s_delay_alu instid0(VALU_DEP_2)
	v_lshl_add_u64 v[8:9], v[8:9], 2, s[30:31]
	v_cmpx_gt_i64_e64 s[6:7], v[2:3]
	s_cbranch_execz .LBB56_41
; %bb.30:
	s_and_b32 vcc_lo, exec_lo, s4
	s_cbranch_vccz .LBB56_36
; %bb.31:
	s_and_b32 vcc_lo, exec_lo, s1
	s_mov_b32 s5, -1
	s_cbranch_vccz .LBB56_33
; %bb.32:
	v_lshl_add_u64 v[10:11], v[2:3], 2, v[8:9]
	v_mul_f32_e32 v13, s20, v4
	s_mov_b32 s5, 0
	global_load_b32 v12, v[10:11], off
	s_wait_loadcnt 0x0
	v_fmac_f32_e32 v13, s22, v12
	global_store_b32 v[10:11], v13, off
.LBB56_33:
	s_and_not1_b32 vcc_lo, exec_lo, s5
	s_cbranch_vccnz .LBB56_35
; %bb.34:
	s_wait_xcnt 0x0
	v_mul_u64_e32 v[10:11], s[2:3], v[2:3]
	v_mul_f32_e32 v13, s20, v4
	s_delay_alu instid0(VALU_DEP_2)
	v_lshl_add_u64 v[10:11], v[10:11], 2, v[6:7]
	global_load_b32 v12, v[10:11], off
	s_wait_loadcnt 0x0
	v_fmac_f32_e32 v13, s22, v12
	global_store_b32 v[10:11], v13, off
.LBB56_35:
	s_cbranch_execz .LBB56_37
	s_branch .LBB56_41
.LBB56_36:
.LBB56_37:
	v_mul_f32_e32 v4, s20, v4
	s_and_b32 vcc_lo, exec_lo, s1
	s_mov_b32 s5, -1
	s_cbranch_vccz .LBB56_39
; %bb.38:
	s_wait_xcnt 0x0
	v_lshl_add_u64 v[10:11], v[2:3], 2, v[8:9]
	s_mov_b32 s5, 0
	global_store_b32 v[10:11], v4, off
.LBB56_39:
	s_and_not1_b32 vcc_lo, exec_lo, s5
	s_cbranch_vccnz .LBB56_41
; %bb.40:
	v_mul_u64_e32 v[2:3], s[2:3], v[2:3]
	s_delay_alu instid0(VALU_DEP_1)
	v_lshl_add_u64 v[2:3], v[2:3], 2, v[6:7]
	global_store_b32 v[2:3], v4, off
.LBB56_41:
	s_wait_xcnt 0x0
	s_or_b32 exec_lo, exec_lo, s0
	v_cmp_gt_i64_e32 vcc_lo, s[6:7], v[0:1]
	s_and_b32 exec_lo, exec_lo, vcc_lo
	s_cbranch_execz .LBB56_48
; %bb.42:
	v_cndmask_b32_e64 v2, 0, 1, s1
	s_and_not1_b32 vcc_lo, exec_lo, s4
	s_delay_alu instid0(VALU_DEP_1)
	v_cmp_ne_u32_e64 s0, 1, v2
	s_cbranch_vccnz .LBB56_49
; %bb.43:
	s_and_b32 vcc_lo, exec_lo, s0
	s_mov_b32 s0, -1
	s_cbranch_vccnz .LBB56_45
; %bb.44:
	v_lshl_add_u64 v[2:3], v[0:1], 2, v[8:9]
	v_mul_f32_e32 v10, s20, v5
	s_mov_b32 s0, 0
	global_load_b32 v4, v[2:3], off
	s_wait_loadcnt 0x0
	v_fmac_f32_e32 v10, s22, v4
	global_store_b32 v[2:3], v10, off
.LBB56_45:
	s_and_not1_b32 vcc_lo, exec_lo, s0
	s_cbranch_vccnz .LBB56_47
; %bb.46:
	s_wait_xcnt 0x0
	v_mul_u64_e32 v[2:3], s[2:3], v[0:1]
	v_mul_f32_e32 v10, s20, v5
	s_delay_alu instid0(VALU_DEP_2)
	v_lshl_add_u64 v[2:3], v[2:3], 2, v[6:7]
	global_load_b32 v4, v[2:3], off
	s_wait_loadcnt 0x0
	v_fmac_f32_e32 v10, s22, v4
	global_store_b32 v[2:3], v10, off
.LBB56_47:
	s_cbranch_execz .LBB56_50
.LBB56_48:
	s_endpgm
.LBB56_49:
.LBB56_50:
	s_wait_xcnt 0x0
	v_mul_f32_e32 v2, s20, v5
	s_and_not1_b32 vcc_lo, exec_lo, s1
	s_mov_b32 s0, -1
	s_cbranch_vccnz .LBB56_52
; %bb.51:
	v_lshl_add_u64 v[4:5], v[0:1], 2, v[8:9]
	s_mov_b32 s0, 0
	global_store_b32 v[4:5], v2, off
.LBB56_52:
	s_and_not1_b32 vcc_lo, exec_lo, s0
	s_cbranch_vccnz .LBB56_48
; %bb.53:
	v_mul_u64_e32 v[0:1], s[2:3], v[0:1]
	s_delay_alu instid0(VALU_DEP_1)
	v_lshl_add_u64 v[0:1], v[0:1], 2, v[6:7]
	global_store_b32 v[0:1], v2, off
	s_endpgm
	.section	.rodata,"a",@progbits
	.p2align	6, 0x0
	.amdhsa_kernel _ZN9rocsparseL31bsrmm_large_blockdim_kernel_extILj8ELj8ELj2EllDF16_DF16_ffEEvb20rocsparse_direction_T3_S2_llNS_24const_host_device_scalarIT7_EEPKT2_PKS2_PKT4_S2_PKT5_llS5_PT6_ll16rocsparse_order_21rocsparse_index_base_b
		.amdhsa_group_segment_fixed_size 768
		.amdhsa_private_segment_fixed_size 0
		.amdhsa_kernarg_size 148
		.amdhsa_user_sgpr_count 2
		.amdhsa_user_sgpr_dispatch_ptr 0
		.amdhsa_user_sgpr_queue_ptr 0
		.amdhsa_user_sgpr_kernarg_segment_ptr 1
		.amdhsa_user_sgpr_dispatch_id 0
		.amdhsa_user_sgpr_kernarg_preload_length 0
		.amdhsa_user_sgpr_kernarg_preload_offset 0
		.amdhsa_user_sgpr_private_segment_size 0
		.amdhsa_wavefront_size32 1
		.amdhsa_uses_dynamic_stack 0
		.amdhsa_enable_private_segment 0
		.amdhsa_system_sgpr_workgroup_id_x 1
		.amdhsa_system_sgpr_workgroup_id_y 1
		.amdhsa_system_sgpr_workgroup_id_z 0
		.amdhsa_system_sgpr_workgroup_info 0
		.amdhsa_system_vgpr_workitem_id 1
		.amdhsa_next_free_vgpr 30
		.amdhsa_next_free_sgpr 40
		.amdhsa_named_barrier_count 0
		.amdhsa_reserve_vcc 1
		.amdhsa_float_round_mode_32 0
		.amdhsa_float_round_mode_16_64 0
		.amdhsa_float_denorm_mode_32 3
		.amdhsa_float_denorm_mode_16_64 3
		.amdhsa_fp16_overflow 0
		.amdhsa_memory_ordered 1
		.amdhsa_forward_progress 1
		.amdhsa_inst_pref_size 14
		.amdhsa_round_robin_scheduling 0
		.amdhsa_exception_fp_ieee_invalid_op 0
		.amdhsa_exception_fp_denorm_src 0
		.amdhsa_exception_fp_ieee_div_zero 0
		.amdhsa_exception_fp_ieee_overflow 0
		.amdhsa_exception_fp_ieee_underflow 0
		.amdhsa_exception_fp_ieee_inexact 0
		.amdhsa_exception_int_div_zero 0
	.end_amdhsa_kernel
	.section	.text._ZN9rocsparseL31bsrmm_large_blockdim_kernel_extILj8ELj8ELj2EllDF16_DF16_ffEEvb20rocsparse_direction_T3_S2_llNS_24const_host_device_scalarIT7_EEPKT2_PKS2_PKT4_S2_PKT5_llS5_PT6_ll16rocsparse_order_21rocsparse_index_base_b,"axG",@progbits,_ZN9rocsparseL31bsrmm_large_blockdim_kernel_extILj8ELj8ELj2EllDF16_DF16_ffEEvb20rocsparse_direction_T3_S2_llNS_24const_host_device_scalarIT7_EEPKT2_PKS2_PKT4_S2_PKT5_llS5_PT6_ll16rocsparse_order_21rocsparse_index_base_b,comdat
.Lfunc_end56:
	.size	_ZN9rocsparseL31bsrmm_large_blockdim_kernel_extILj8ELj8ELj2EllDF16_DF16_ffEEvb20rocsparse_direction_T3_S2_llNS_24const_host_device_scalarIT7_EEPKT2_PKS2_PKT4_S2_PKT5_llS5_PT6_ll16rocsparse_order_21rocsparse_index_base_b, .Lfunc_end56-_ZN9rocsparseL31bsrmm_large_blockdim_kernel_extILj8ELj8ELj2EllDF16_DF16_ffEEvb20rocsparse_direction_T3_S2_llNS_24const_host_device_scalarIT7_EEPKT2_PKS2_PKT4_S2_PKT5_llS5_PT6_ll16rocsparse_order_21rocsparse_index_base_b
                                        ; -- End function
	.set _ZN9rocsparseL31bsrmm_large_blockdim_kernel_extILj8ELj8ELj2EllDF16_DF16_ffEEvb20rocsparse_direction_T3_S2_llNS_24const_host_device_scalarIT7_EEPKT2_PKS2_PKT4_S2_PKT5_llS5_PT6_ll16rocsparse_order_21rocsparse_index_base_b.num_vgpr, 30
	.set _ZN9rocsparseL31bsrmm_large_blockdim_kernel_extILj8ELj8ELj2EllDF16_DF16_ffEEvb20rocsparse_direction_T3_S2_llNS_24const_host_device_scalarIT7_EEPKT2_PKS2_PKT4_S2_PKT5_llS5_PT6_ll16rocsparse_order_21rocsparse_index_base_b.num_agpr, 0
	.set _ZN9rocsparseL31bsrmm_large_blockdim_kernel_extILj8ELj8ELj2EllDF16_DF16_ffEEvb20rocsparse_direction_T3_S2_llNS_24const_host_device_scalarIT7_EEPKT2_PKS2_PKT4_S2_PKT5_llS5_PT6_ll16rocsparse_order_21rocsparse_index_base_b.numbered_sgpr, 40
	.set _ZN9rocsparseL31bsrmm_large_blockdim_kernel_extILj8ELj8ELj2EllDF16_DF16_ffEEvb20rocsparse_direction_T3_S2_llNS_24const_host_device_scalarIT7_EEPKT2_PKS2_PKT4_S2_PKT5_llS5_PT6_ll16rocsparse_order_21rocsparse_index_base_b.num_named_barrier, 0
	.set _ZN9rocsparseL31bsrmm_large_blockdim_kernel_extILj8ELj8ELj2EllDF16_DF16_ffEEvb20rocsparse_direction_T3_S2_llNS_24const_host_device_scalarIT7_EEPKT2_PKS2_PKT4_S2_PKT5_llS5_PT6_ll16rocsparse_order_21rocsparse_index_base_b.private_seg_size, 0
	.set _ZN9rocsparseL31bsrmm_large_blockdim_kernel_extILj8ELj8ELj2EllDF16_DF16_ffEEvb20rocsparse_direction_T3_S2_llNS_24const_host_device_scalarIT7_EEPKT2_PKS2_PKT4_S2_PKT5_llS5_PT6_ll16rocsparse_order_21rocsparse_index_base_b.uses_vcc, 1
	.set _ZN9rocsparseL31bsrmm_large_blockdim_kernel_extILj8ELj8ELj2EllDF16_DF16_ffEEvb20rocsparse_direction_T3_S2_llNS_24const_host_device_scalarIT7_EEPKT2_PKS2_PKT4_S2_PKT5_llS5_PT6_ll16rocsparse_order_21rocsparse_index_base_b.uses_flat_scratch, 0
	.set _ZN9rocsparseL31bsrmm_large_blockdim_kernel_extILj8ELj8ELj2EllDF16_DF16_ffEEvb20rocsparse_direction_T3_S2_llNS_24const_host_device_scalarIT7_EEPKT2_PKS2_PKT4_S2_PKT5_llS5_PT6_ll16rocsparse_order_21rocsparse_index_base_b.has_dyn_sized_stack, 0
	.set _ZN9rocsparseL31bsrmm_large_blockdim_kernel_extILj8ELj8ELj2EllDF16_DF16_ffEEvb20rocsparse_direction_T3_S2_llNS_24const_host_device_scalarIT7_EEPKT2_PKS2_PKT4_S2_PKT5_llS5_PT6_ll16rocsparse_order_21rocsparse_index_base_b.has_recursion, 0
	.set _ZN9rocsparseL31bsrmm_large_blockdim_kernel_extILj8ELj8ELj2EllDF16_DF16_ffEEvb20rocsparse_direction_T3_S2_llNS_24const_host_device_scalarIT7_EEPKT2_PKS2_PKT4_S2_PKT5_llS5_PT6_ll16rocsparse_order_21rocsparse_index_base_b.has_indirect_call, 0
	.section	.AMDGPU.csdata,"",@progbits
; Kernel info:
; codeLenInByte = 1764
; TotalNumSgprs: 42
; NumVgprs: 30
; ScratchSize: 0
; MemoryBound: 0
; FloatMode: 240
; IeeeMode: 1
; LDSByteSize: 768 bytes/workgroup (compile time only)
; SGPRBlocks: 0
; VGPRBlocks: 1
; NumSGPRsForWavesPerEU: 42
; NumVGPRsForWavesPerEU: 30
; NamedBarCnt: 0
; Occupancy: 16
; WaveLimiterHint : 1
; COMPUTE_PGM_RSRC2:SCRATCH_EN: 0
; COMPUTE_PGM_RSRC2:USER_SGPR: 2
; COMPUTE_PGM_RSRC2:TRAP_HANDLER: 0
; COMPUTE_PGM_RSRC2:TGID_X_EN: 1
; COMPUTE_PGM_RSRC2:TGID_Y_EN: 1
; COMPUTE_PGM_RSRC2:TGID_Z_EN: 0
; COMPUTE_PGM_RSRC2:TIDIG_COMP_CNT: 1
	.section	.text._ZN9rocsparseL31bsrmm_large_blockdim_kernel_extILj4ELj16ELj2EllDF16_DF16_ffEEvb20rocsparse_direction_T3_S2_llNS_24const_host_device_scalarIT7_EEPKT2_PKS2_PKT4_S2_PKT5_llS5_PT6_ll16rocsparse_order_21rocsparse_index_base_b,"axG",@progbits,_ZN9rocsparseL31bsrmm_large_blockdim_kernel_extILj4ELj16ELj2EllDF16_DF16_ffEEvb20rocsparse_direction_T3_S2_llNS_24const_host_device_scalarIT7_EEPKT2_PKS2_PKT4_S2_PKT5_llS5_PT6_ll16rocsparse_order_21rocsparse_index_base_b,comdat
	.globl	_ZN9rocsparseL31bsrmm_large_blockdim_kernel_extILj4ELj16ELj2EllDF16_DF16_ffEEvb20rocsparse_direction_T3_S2_llNS_24const_host_device_scalarIT7_EEPKT2_PKS2_PKT4_S2_PKT5_llS5_PT6_ll16rocsparse_order_21rocsparse_index_base_b ; -- Begin function _ZN9rocsparseL31bsrmm_large_blockdim_kernel_extILj4ELj16ELj2EllDF16_DF16_ffEEvb20rocsparse_direction_T3_S2_llNS_24const_host_device_scalarIT7_EEPKT2_PKS2_PKT4_S2_PKT5_llS5_PT6_ll16rocsparse_order_21rocsparse_index_base_b
	.p2align	8
	.type	_ZN9rocsparseL31bsrmm_large_blockdim_kernel_extILj4ELj16ELj2EllDF16_DF16_ffEEvb20rocsparse_direction_T3_S2_llNS_24const_host_device_scalarIT7_EEPKT2_PKS2_PKT4_S2_PKT5_llS5_PT6_ll16rocsparse_order_21rocsparse_index_base_b,@function
_ZN9rocsparseL31bsrmm_large_blockdim_kernel_extILj4ELj16ELj2EllDF16_DF16_ffEEvb20rocsparse_direction_T3_S2_llNS_24const_host_device_scalarIT7_EEPKT2_PKS2_PKT4_S2_PKT5_llS5_PT6_ll16rocsparse_order_21rocsparse_index_base_b: ; @_ZN9rocsparseL31bsrmm_large_blockdim_kernel_extILj4ELj16ELj2EllDF16_DF16_ffEEvb20rocsparse_direction_T3_S2_llNS_24const_host_device_scalarIT7_EEPKT2_PKS2_PKT4_S2_PKT5_llS5_PT6_ll16rocsparse_order_21rocsparse_index_base_b
; %bb.0:
	s_clause 0x2
	s_load_b96 s[16:18], s[0:1], 0x88
	s_load_b64 s[20:21], s[0:1], 0x28
	s_load_b64 s[22:23], s[0:1], 0x68
	s_wait_kmcnt 0x0
	s_bitcmp1_b32 s18, 0
	s_cselect_b32 s2, -1, 0
	s_delay_alu instid0(SALU_CYCLE_1)
	s_and_b32 vcc_lo, exec_lo, s2
	s_xor_b32 s2, s2, -1
	s_cbranch_vccnz .LBB57_2
; %bb.1:
	s_load_b32 s20, s[20:21], 0x0
.LBB57_2:
	s_and_not1_b32 vcc_lo, exec_lo, s2
	s_cbranch_vccnz .LBB57_4
; %bb.3:
	s_load_b32 s22, s[22:23], 0x0
.LBB57_4:
	s_wait_kmcnt 0x0
	s_cmp_eq_f32 s20, 0
	s_cselect_b32 s2, -1, 0
	s_cmp_eq_f32 s22, 1.0
	s_cselect_b32 s3, -1, 0
	s_delay_alu instid0(SALU_CYCLE_1) | instskip(NEXT) | instid1(SALU_CYCLE_1)
	s_and_b32 s2, s2, s3
	s_and_b32 vcc_lo, exec_lo, s2
	s_cbranch_vccnz .LBB57_48
; %bb.5:
	s_clause 0x1
	s_load_b128 s[4:7], s[0:1], 0x8
	s_load_b64 s[2:3], s[0:1], 0x30
	s_bfe_u32 s8, ttmp6, 0x4000c
	s_and_b32 s9, ttmp6, 15
	s_add_co_i32 s8, s8, 1
	s_mov_b64 s[24:25], 0
	s_mul_i32 s10, ttmp9, s8
	s_getreg_b32 s8, hwreg(HW_REG_IB_STS2, 6, 4)
	s_add_co_i32 s9, s9, s10
	s_cmp_eq_u32 s8, 0
	s_mov_b64 s[26:27], 0
	s_cselect_b32 s18, ttmp9, s9
	s_delay_alu instid0(SALU_CYCLE_1)
	s_ashr_i32 s19, s18, 31
	s_wait_kmcnt 0x0
	v_cmp_le_i64_e64 s9, s[4:5], s[18:19]
	v_cmp_gt_i64_e64 s21, s[4:5], s[18:19]
	s_and_b32 vcc_lo, exec_lo, s9
	s_cbranch_vccnz .LBB57_7
; %bb.6:
	s_lshl_b64 s[4:5], s[18:19], 3
	s_mov_b32 s11, 0
	s_add_nc_u64 s[4:5], s[2:3], s[4:5]
	s_mov_b32 s10, s17
	s_load_b64 s[4:5], s[4:5], 0x0
	s_wait_kmcnt 0x0
	s_sub_nc_u64 s[26:27], s[4:5], s[10:11]
.LBB57_7:
	s_and_not1_b32 vcc_lo, exec_lo, s21
	s_cbranch_vccnz .LBB57_9
; %bb.8:
	s_lshl_b64 s[4:5], s[18:19], 3
	s_delay_alu instid0(SALU_CYCLE_1)
	s_add_nc_u64 s[2:3], s[2:3], s[4:5]
	s_mov_b32 s5, 0
	s_load_b64 s[2:3], s[2:3], 0x8
	s_mov_b32 s4, s17
	s_wait_kmcnt 0x0
	s_sub_nc_u64 s[24:25], s[2:3], s[4:5]
.LBB57_9:
	s_bfe_u32 s2, ttmp6, 0x40010
	s_clause 0x1
	s_load_b64 s[28:29], s[0:1], 0x48
	s_load_b64 s[30:31], s[0:1], 0x70
	s_add_co_i32 s2, s2, 1
	s_bfe_u32 s3, ttmp6, 0x40004
	s_mul_i32 s2, ttmp7, s2
	v_bfe_u32 v4, v0, 10, 10
	s_add_co_i32 s3, s3, s2
	s_cmp_eq_u32 s8, 0
	v_and_b32_e32 v6, 0x3ff, v0
	s_cselect_b32 s2, ttmp7, s3
	v_cmp_ge_i64_e64 s5, s[26:27], s[24:25]
	v_lshl_add_u32 v2, s2, 5, v4
	v_mov_b32_e32 v3, 0
	s_mov_b32 s35, 0
	s_delay_alu instid0(VALU_DEP_1)
	v_dual_mov_b32 v7, v3 :: v_dual_add_nc_u32 v0, 16, v2
	v_mov_b32_e32 v1, v3
	v_cmp_gt_i64_e64 s3, s[6:7], v[2:3]
	s_and_b32 vcc_lo, exec_lo, s5
	s_wait_kmcnt 0x0
	v_cmp_gt_i64_e64 s2, s[28:29], v[6:7]
	v_cmp_gt_i64_e64 s4, s[6:7], v[0:1]
	s_cbranch_vccnz .LBB57_27
; %bb.10:
	v_dual_mov_b32 v5, v3 :: v_dual_lshlrev_b32 v23, 2, v6
	s_load_b128 s[8:11], s[0:1], 0x50
	v_mul_u64_e32 v[12:13], s[28:29], v[6:7]
	s_clause 0x1
	s_load_b128 s[12:15], s[0:1], 0x38
	s_load_b64 s[38:39], s[0:1], 0x0
	v_mul_u64_e32 v[14:15], s[28:29], v[4:5]
	v_cmp_gt_i64_e32 vcc_lo, s[28:29], v[4:5]
	v_dual_mov_b32 v17, v3 :: v_dual_lshlrev_b32 v16, 1, v6
	v_dual_mov_b32 v19, v3 :: v_dual_lshlrev_b32 v18, 1, v4
	v_lshl_add_u32 v24, v4, 2, 0x200
	v_dual_lshlrev_b32 v20, 4, v4 :: v_dual_lshlrev_b32 v25, 4, v6
	s_and_b32 s19, s2, vcc_lo
	v_cmp_gt_i64_e64 s23, s[28:29], 0
	v_mov_b64_e32 v[4:5], 0
	s_delay_alu instid0(VALU_DEP_3)
	v_dual_add_nc_u32 v23, v23, v20 :: v_dual_add_nc_u32 v24, v24, v25
	s_mul_u64 s[36:37], s[28:29], s[28:29]
	s_mov_b32 s34, s17
	s_wait_kmcnt 0x0
	v_mul_u64_e32 v[8:9], s[10:11], v[2:3]
	v_mul_u64_e32 v[10:11], s[10:11], v[0:1]
	s_bitcmp1_b32 s38, 0
	s_cselect_b32 s5, -1, 0
	s_cmp_eq_u32 s39, 0
	s_cselect_b32 vcc_lo, -1, 0
	s_and_b32 s17, s3, s23
	s_and_b32 s23, s4, s23
	v_lshl_add_u64 v[12:13], v[12:13], 1, s[14:15]
	v_lshl_add_u64 v[14:15], v[14:15], 1, s[14:15]
	s_delay_alu instid0(VALU_DEP_2) | instskip(SKIP_1) | instid1(VALU_DEP_3)
	v_add_nc_u64_e32 v[18:19], v[12:13], v[18:19]
	v_add_nc_u64_e32 v[12:13], s[8:9], v[16:17]
	;; [unrolled: 1-line block ×3, first 2 shown]
	v_add_nc_u32_e32 v21, 0x200, v25
	s_delay_alu instid0(VALU_DEP_2) | instskip(NEXT) | instid1(VALU_DEP_3)
	v_dual_cndmask_b32 v15, v15, v19 :: v_dual_add_nc_u32 v22, 0x100, v20
	v_cndmask_b32_e32 v14, v14, v18, vcc_lo
	s_branch .LBB57_13
.LBB57_11:                              ;   in Loop: Header=BB57_13 Depth=1
	s_or_b32 exec_lo, exec_lo, s38
.LBB57_12:                              ;   in Loop: Header=BB57_13 Depth=1
	s_delay_alu instid0(SALU_CYCLE_1) | instskip(SKIP_1) | instid1(SALU_CYCLE_1)
	s_or_b32 exec_lo, exec_lo, s33
	s_add_nc_u64 s[26:27], s[26:27], 1
	v_cmp_ge_i64_e64 s14, s[26:27], s[24:25]
	s_barrier_signal -1
	s_barrier_wait -1
	s_and_b32 vcc_lo, exec_lo, s14
	s_cbranch_vccnz .LBB57_28
.LBB57_13:                              ; =>This Loop Header: Depth=1
                                        ;     Child Loop BB57_23 Depth 2
                                        ;     Child Loop BB57_26 Depth 2
	s_and_saveexec_b32 s14, s2
	s_cbranch_execz .LBB57_18
; %bb.14:                               ;   in Loop: Header=BB57_13 Depth=1
	s_lshl_b64 s[38:39], s[26:27], 3
	s_delay_alu instid0(SALU_CYCLE_1) | instskip(SKIP_3) | instid1(SALU_CYCLE_1)
	s_add_nc_u64 s[38:39], s[12:13], s[38:39]
	s_load_b64 s[38:39], s[38:39], 0x0
	s_wait_kmcnt 0x0
	s_sub_nc_u64 s[38:39], s[38:39], s[34:35]
	s_mul_u64 s[38:39], s[38:39], s[28:29]
	s_delay_alu instid0(SALU_CYCLE_1) | instskip(SKIP_1) | instid1(VALU_DEP_2)
	v_add_nc_u64_e32 v[16:17], s[38:39], v[6:7]
	v_lshl_add_u64 v[18:19], s[38:39], 1, v[12:13]
	v_mul_u64_e32 v[16:17], s[10:11], v[16:17]
	s_delay_alu instid0(VALU_DEP_1)
	v_lshl_add_u64 v[16:17], v[16:17], 1, s[8:9]
	s_and_saveexec_b32 s15, s3
	s_cbranch_execz .LBB57_16
; %bb.15:                               ;   in Loop: Header=BB57_13 Depth=1
	s_delay_alu instid0(VALU_DEP_1) | instskip(SKIP_1) | instid1(VALU_DEP_1)
	v_lshl_add_u64 v[26:27], v[2:3], 1, v[16:17]
	v_lshl_add_u64 v[28:29], v[8:9], 1, v[18:19]
	v_dual_cndmask_b32 v27, v27, v29, s5 :: v_dual_cndmask_b32 v26, v26, v28, s5
	global_load_u16 v25, v[26:27], off
	s_wait_loadcnt 0x0
	v_cvt_f32_f16_e32 v25, v25
	ds_store_b32 v23, v25
.LBB57_16:                              ;   in Loop: Header=BB57_13 Depth=1
	s_or_b32 exec_lo, exec_lo, s15
	s_delay_alu instid0(SALU_CYCLE_1)
	s_and_b32 exec_lo, exec_lo, s4
	s_cbranch_execz .LBB57_18
; %bb.17:                               ;   in Loop: Header=BB57_13 Depth=1
	v_lshl_add_u64 v[18:19], v[10:11], 1, v[18:19]
	v_lshl_add_u64 v[16:17], v[0:1], 1, v[16:17]
	s_delay_alu instid0(VALU_DEP_1)
	v_dual_cndmask_b32 v17, v17, v19, s5 :: v_dual_cndmask_b32 v16, v16, v18, s5
	global_load_u16 v16, v[16:17], off
	s_wait_loadcnt 0x0
	v_cvt_f32_f16_e32 v16, v16
	ds_store_b32 v23, v16 offset:256
.LBB57_18:                              ;   in Loop: Header=BB57_13 Depth=1
	s_or_b32 exec_lo, exec_lo, s14
	s_and_saveexec_b32 s14, s19
	s_cbranch_execz .LBB57_20
; %bb.19:                               ;   in Loop: Header=BB57_13 Depth=1
	s_mul_u64 s[38:39], s[36:37], s[26:27]
	s_delay_alu instid0(SALU_CYCLE_1)
	v_lshl_add_u64 v[16:17], s[38:39], 1, v[14:15]
	global_load_u16 v16, v[16:17], off
	s_wait_loadcnt 0x0
	v_cvt_f32_f16_e32 v16, v16
	ds_store_b32 v24, v16
.LBB57_20:                              ;   in Loop: Header=BB57_13 Depth=1
	s_or_b32 exec_lo, exec_lo, s14
	s_wait_dscnt 0x0
	s_barrier_signal -1
	s_barrier_wait -1
	s_and_saveexec_b32 s33, s2
	s_cbranch_execz .LBB57_12
; %bb.21:                               ;   in Loop: Header=BB57_13 Depth=1
	s_and_saveexec_b32 s38, s17
	s_cbranch_execz .LBB57_24
; %bb.22:                               ;   in Loop: Header=BB57_13 Depth=1
	v_dual_mov_b32 v16, v21 :: v_dual_mov_b32 v17, v20
	s_mov_b64 s[14:15], s[28:29]
.LBB57_23:                              ;   Parent Loop BB57_13 Depth=1
                                        ; =>  This Inner Loop Header: Depth=2
	ds_load_b32 v18, v16
	ds_load_b32 v19, v17
	v_dual_add_nc_u32 v17, 4, v17 :: v_dual_add_nc_u32 v16, 4, v16
	s_add_nc_u64 s[14:15], s[14:15], -1
	s_delay_alu instid0(SALU_CYCLE_1)
	s_cmp_lg_u64 s[14:15], 0
	s_wait_dscnt 0x0
	v_fma_f32 v4, v18, v19, v4
	s_cbranch_scc1 .LBB57_23
.LBB57_24:                              ;   in Loop: Header=BB57_13 Depth=1
	s_or_b32 exec_lo, exec_lo, s38
	s_and_saveexec_b32 s38, s23
	s_cbranch_execz .LBB57_11
; %bb.25:                               ;   in Loop: Header=BB57_13 Depth=1
	v_dual_mov_b32 v16, v21 :: v_dual_mov_b32 v17, v22
	s_mov_b64 s[14:15], s[28:29]
.LBB57_26:                              ;   Parent Loop BB57_13 Depth=1
                                        ; =>  This Inner Loop Header: Depth=2
	ds_load_b32 v18, v16
	ds_load_b32 v19, v17
	v_dual_add_nc_u32 v17, 4, v17 :: v_dual_add_nc_u32 v16, 4, v16
	s_add_nc_u64 s[14:15], s[14:15], -1
	s_delay_alu instid0(SALU_CYCLE_1)
	s_cmp_lg_u64 s[14:15], 0
	s_wait_dscnt 0x0
	v_fma_f32 v5, v18, v19, v5
	s_cbranch_scc1 .LBB57_26
	s_branch .LBB57_11
.LBB57_27:
	v_mov_b64_e32 v[4:5], 0
.LBB57_28:
	s_and_b32 s2, s21, s2
	s_delay_alu instid0(SALU_CYCLE_1)
	s_and_saveexec_b32 s3, s2
	s_cbranch_execz .LBB57_48
; %bb.29:
	v_mad_nc_u64_u32 v[6:7], s28, s18, v[6:7]
	s_load_b64 s[2:3], s[0:1], 0x78
	s_cmp_neq_f32 s22, 0
	s_wait_xcnt 0x0
	s_mov_b32 s0, exec_lo
	s_cselect_b32 s4, -1, 0
	s_cmp_lg_u32 s16, 1
	s_cselect_b32 s1, -1, 0
	s_delay_alu instid0(VALU_DEP_1) | instskip(SKIP_1) | instid1(VALU_DEP_1)
	v_mad_u32 v7, s29, s18, v7
	s_wait_kmcnt 0x0
	v_mul_u64_e32 v[8:9], s[2:3], v[6:7]
	v_lshl_add_u64 v[6:7], v[6:7], 2, s[30:31]
	s_delay_alu instid0(VALU_DEP_2)
	v_lshl_add_u64 v[8:9], v[8:9], 2, s[30:31]
	v_cmpx_gt_i64_e64 s[6:7], v[2:3]
	s_cbranch_execz .LBB57_41
; %bb.30:
	s_and_b32 vcc_lo, exec_lo, s4
	s_cbranch_vccz .LBB57_36
; %bb.31:
	s_and_b32 vcc_lo, exec_lo, s1
	s_mov_b32 s5, -1
	s_cbranch_vccz .LBB57_33
; %bb.32:
	v_lshl_add_u64 v[10:11], v[2:3], 2, v[8:9]
	v_mul_f32_e32 v13, s20, v4
	s_mov_b32 s5, 0
	global_load_b32 v12, v[10:11], off
	s_wait_loadcnt 0x0
	v_fmac_f32_e32 v13, s22, v12
	global_store_b32 v[10:11], v13, off
.LBB57_33:
	s_and_not1_b32 vcc_lo, exec_lo, s5
	s_cbranch_vccnz .LBB57_35
; %bb.34:
	s_wait_xcnt 0x0
	v_mul_u64_e32 v[10:11], s[2:3], v[2:3]
	v_mul_f32_e32 v13, s20, v4
	s_delay_alu instid0(VALU_DEP_2)
	v_lshl_add_u64 v[10:11], v[10:11], 2, v[6:7]
	global_load_b32 v12, v[10:11], off
	s_wait_loadcnt 0x0
	v_fmac_f32_e32 v13, s22, v12
	global_store_b32 v[10:11], v13, off
.LBB57_35:
	s_cbranch_execz .LBB57_37
	s_branch .LBB57_41
.LBB57_36:
.LBB57_37:
	v_mul_f32_e32 v4, s20, v4
	s_and_b32 vcc_lo, exec_lo, s1
	s_mov_b32 s5, -1
	s_cbranch_vccz .LBB57_39
; %bb.38:
	s_wait_xcnt 0x0
	v_lshl_add_u64 v[10:11], v[2:3], 2, v[8:9]
	s_mov_b32 s5, 0
	global_store_b32 v[10:11], v4, off
.LBB57_39:
	s_and_not1_b32 vcc_lo, exec_lo, s5
	s_cbranch_vccnz .LBB57_41
; %bb.40:
	v_mul_u64_e32 v[2:3], s[2:3], v[2:3]
	s_delay_alu instid0(VALU_DEP_1)
	v_lshl_add_u64 v[2:3], v[2:3], 2, v[6:7]
	global_store_b32 v[2:3], v4, off
.LBB57_41:
	s_wait_xcnt 0x0
	s_or_b32 exec_lo, exec_lo, s0
	v_cmp_gt_i64_e32 vcc_lo, s[6:7], v[0:1]
	s_and_b32 exec_lo, exec_lo, vcc_lo
	s_cbranch_execz .LBB57_48
; %bb.42:
	v_cndmask_b32_e64 v2, 0, 1, s1
	s_and_not1_b32 vcc_lo, exec_lo, s4
	s_delay_alu instid0(VALU_DEP_1)
	v_cmp_ne_u32_e64 s0, 1, v2
	s_cbranch_vccnz .LBB57_49
; %bb.43:
	s_and_b32 vcc_lo, exec_lo, s0
	s_mov_b32 s0, -1
	s_cbranch_vccnz .LBB57_45
; %bb.44:
	v_lshl_add_u64 v[2:3], v[0:1], 2, v[8:9]
	v_mul_f32_e32 v10, s20, v5
	s_mov_b32 s0, 0
	global_load_b32 v4, v[2:3], off
	s_wait_loadcnt 0x0
	v_fmac_f32_e32 v10, s22, v4
	global_store_b32 v[2:3], v10, off
.LBB57_45:
	s_and_not1_b32 vcc_lo, exec_lo, s0
	s_cbranch_vccnz .LBB57_47
; %bb.46:
	s_wait_xcnt 0x0
	v_mul_u64_e32 v[2:3], s[2:3], v[0:1]
	v_mul_f32_e32 v10, s20, v5
	s_delay_alu instid0(VALU_DEP_2)
	v_lshl_add_u64 v[2:3], v[2:3], 2, v[6:7]
	global_load_b32 v4, v[2:3], off
	s_wait_loadcnt 0x0
	v_fmac_f32_e32 v10, s22, v4
	global_store_b32 v[2:3], v10, off
.LBB57_47:
	s_cbranch_execz .LBB57_50
.LBB57_48:
	s_endpgm
.LBB57_49:
.LBB57_50:
	s_wait_xcnt 0x0
	v_mul_f32_e32 v2, s20, v5
	s_and_not1_b32 vcc_lo, exec_lo, s1
	s_mov_b32 s0, -1
	s_cbranch_vccnz .LBB57_52
; %bb.51:
	v_lshl_add_u64 v[4:5], v[0:1], 2, v[8:9]
	s_mov_b32 s0, 0
	global_store_b32 v[4:5], v2, off
.LBB57_52:
	s_and_not1_b32 vcc_lo, exec_lo, s0
	s_cbranch_vccnz .LBB57_48
; %bb.53:
	v_mul_u64_e32 v[0:1], s[2:3], v[0:1]
	s_delay_alu instid0(VALU_DEP_1)
	v_lshl_add_u64 v[0:1], v[0:1], 2, v[6:7]
	global_store_b32 v[0:1], v2, off
	s_endpgm
	.section	.rodata,"a",@progbits
	.p2align	6, 0x0
	.amdhsa_kernel _ZN9rocsparseL31bsrmm_large_blockdim_kernel_extILj4ELj16ELj2EllDF16_DF16_ffEEvb20rocsparse_direction_T3_S2_llNS_24const_host_device_scalarIT7_EEPKT2_PKS2_PKT4_S2_PKT5_llS5_PT6_ll16rocsparse_order_21rocsparse_index_base_b
		.amdhsa_group_segment_fixed_size 576
		.amdhsa_private_segment_fixed_size 0
		.amdhsa_kernarg_size 148
		.amdhsa_user_sgpr_count 2
		.amdhsa_user_sgpr_dispatch_ptr 0
		.amdhsa_user_sgpr_queue_ptr 0
		.amdhsa_user_sgpr_kernarg_segment_ptr 1
		.amdhsa_user_sgpr_dispatch_id 0
		.amdhsa_user_sgpr_kernarg_preload_length 0
		.amdhsa_user_sgpr_kernarg_preload_offset 0
		.amdhsa_user_sgpr_private_segment_size 0
		.amdhsa_wavefront_size32 1
		.amdhsa_uses_dynamic_stack 0
		.amdhsa_enable_private_segment 0
		.amdhsa_system_sgpr_workgroup_id_x 1
		.amdhsa_system_sgpr_workgroup_id_y 1
		.amdhsa_system_sgpr_workgroup_id_z 0
		.amdhsa_system_sgpr_workgroup_info 0
		.amdhsa_system_vgpr_workitem_id 1
		.amdhsa_next_free_vgpr 30
		.amdhsa_next_free_sgpr 40
		.amdhsa_named_barrier_count 0
		.amdhsa_reserve_vcc 1
		.amdhsa_float_round_mode_32 0
		.amdhsa_float_round_mode_16_64 0
		.amdhsa_float_denorm_mode_32 3
		.amdhsa_float_denorm_mode_16_64 3
		.amdhsa_fp16_overflow 0
		.amdhsa_memory_ordered 1
		.amdhsa_forward_progress 1
		.amdhsa_inst_pref_size 14
		.amdhsa_round_robin_scheduling 0
		.amdhsa_exception_fp_ieee_invalid_op 0
		.amdhsa_exception_fp_denorm_src 0
		.amdhsa_exception_fp_ieee_div_zero 0
		.amdhsa_exception_fp_ieee_overflow 0
		.amdhsa_exception_fp_ieee_underflow 0
		.amdhsa_exception_fp_ieee_inexact 0
		.amdhsa_exception_int_div_zero 0
	.end_amdhsa_kernel
	.section	.text._ZN9rocsparseL31bsrmm_large_blockdim_kernel_extILj4ELj16ELj2EllDF16_DF16_ffEEvb20rocsparse_direction_T3_S2_llNS_24const_host_device_scalarIT7_EEPKT2_PKS2_PKT4_S2_PKT5_llS5_PT6_ll16rocsparse_order_21rocsparse_index_base_b,"axG",@progbits,_ZN9rocsparseL31bsrmm_large_blockdim_kernel_extILj4ELj16ELj2EllDF16_DF16_ffEEvb20rocsparse_direction_T3_S2_llNS_24const_host_device_scalarIT7_EEPKT2_PKS2_PKT4_S2_PKT5_llS5_PT6_ll16rocsparse_order_21rocsparse_index_base_b,comdat
.Lfunc_end57:
	.size	_ZN9rocsparseL31bsrmm_large_blockdim_kernel_extILj4ELj16ELj2EllDF16_DF16_ffEEvb20rocsparse_direction_T3_S2_llNS_24const_host_device_scalarIT7_EEPKT2_PKS2_PKT4_S2_PKT5_llS5_PT6_ll16rocsparse_order_21rocsparse_index_base_b, .Lfunc_end57-_ZN9rocsparseL31bsrmm_large_blockdim_kernel_extILj4ELj16ELj2EllDF16_DF16_ffEEvb20rocsparse_direction_T3_S2_llNS_24const_host_device_scalarIT7_EEPKT2_PKS2_PKT4_S2_PKT5_llS5_PT6_ll16rocsparse_order_21rocsparse_index_base_b
                                        ; -- End function
	.set _ZN9rocsparseL31bsrmm_large_blockdim_kernel_extILj4ELj16ELj2EllDF16_DF16_ffEEvb20rocsparse_direction_T3_S2_llNS_24const_host_device_scalarIT7_EEPKT2_PKS2_PKT4_S2_PKT5_llS5_PT6_ll16rocsparse_order_21rocsparse_index_base_b.num_vgpr, 30
	.set _ZN9rocsparseL31bsrmm_large_blockdim_kernel_extILj4ELj16ELj2EllDF16_DF16_ffEEvb20rocsparse_direction_T3_S2_llNS_24const_host_device_scalarIT7_EEPKT2_PKS2_PKT4_S2_PKT5_llS5_PT6_ll16rocsparse_order_21rocsparse_index_base_b.num_agpr, 0
	.set _ZN9rocsparseL31bsrmm_large_blockdim_kernel_extILj4ELj16ELj2EllDF16_DF16_ffEEvb20rocsparse_direction_T3_S2_llNS_24const_host_device_scalarIT7_EEPKT2_PKS2_PKT4_S2_PKT5_llS5_PT6_ll16rocsparse_order_21rocsparse_index_base_b.numbered_sgpr, 40
	.set _ZN9rocsparseL31bsrmm_large_blockdim_kernel_extILj4ELj16ELj2EllDF16_DF16_ffEEvb20rocsparse_direction_T3_S2_llNS_24const_host_device_scalarIT7_EEPKT2_PKS2_PKT4_S2_PKT5_llS5_PT6_ll16rocsparse_order_21rocsparse_index_base_b.num_named_barrier, 0
	.set _ZN9rocsparseL31bsrmm_large_blockdim_kernel_extILj4ELj16ELj2EllDF16_DF16_ffEEvb20rocsparse_direction_T3_S2_llNS_24const_host_device_scalarIT7_EEPKT2_PKS2_PKT4_S2_PKT5_llS5_PT6_ll16rocsparse_order_21rocsparse_index_base_b.private_seg_size, 0
	.set _ZN9rocsparseL31bsrmm_large_blockdim_kernel_extILj4ELj16ELj2EllDF16_DF16_ffEEvb20rocsparse_direction_T3_S2_llNS_24const_host_device_scalarIT7_EEPKT2_PKS2_PKT4_S2_PKT5_llS5_PT6_ll16rocsparse_order_21rocsparse_index_base_b.uses_vcc, 1
	.set _ZN9rocsparseL31bsrmm_large_blockdim_kernel_extILj4ELj16ELj2EllDF16_DF16_ffEEvb20rocsparse_direction_T3_S2_llNS_24const_host_device_scalarIT7_EEPKT2_PKS2_PKT4_S2_PKT5_llS5_PT6_ll16rocsparse_order_21rocsparse_index_base_b.uses_flat_scratch, 0
	.set _ZN9rocsparseL31bsrmm_large_blockdim_kernel_extILj4ELj16ELj2EllDF16_DF16_ffEEvb20rocsparse_direction_T3_S2_llNS_24const_host_device_scalarIT7_EEPKT2_PKS2_PKT4_S2_PKT5_llS5_PT6_ll16rocsparse_order_21rocsparse_index_base_b.has_dyn_sized_stack, 0
	.set _ZN9rocsparseL31bsrmm_large_blockdim_kernel_extILj4ELj16ELj2EllDF16_DF16_ffEEvb20rocsparse_direction_T3_S2_llNS_24const_host_device_scalarIT7_EEPKT2_PKS2_PKT4_S2_PKT5_llS5_PT6_ll16rocsparse_order_21rocsparse_index_base_b.has_recursion, 0
	.set _ZN9rocsparseL31bsrmm_large_blockdim_kernel_extILj4ELj16ELj2EllDF16_DF16_ffEEvb20rocsparse_direction_T3_S2_llNS_24const_host_device_scalarIT7_EEPKT2_PKS2_PKT4_S2_PKT5_llS5_PT6_ll16rocsparse_order_21rocsparse_index_base_b.has_indirect_call, 0
	.section	.AMDGPU.csdata,"",@progbits
; Kernel info:
; codeLenInByte = 1764
; TotalNumSgprs: 42
; NumVgprs: 30
; ScratchSize: 0
; MemoryBound: 0
; FloatMode: 240
; IeeeMode: 1
; LDSByteSize: 576 bytes/workgroup (compile time only)
; SGPRBlocks: 0
; VGPRBlocks: 1
; NumSGPRsForWavesPerEU: 42
; NumVGPRsForWavesPerEU: 30
; NamedBarCnt: 0
; Occupancy: 16
; WaveLimiterHint : 1
; COMPUTE_PGM_RSRC2:SCRATCH_EN: 0
; COMPUTE_PGM_RSRC2:USER_SGPR: 2
; COMPUTE_PGM_RSRC2:TRAP_HANDLER: 0
; COMPUTE_PGM_RSRC2:TGID_X_EN: 1
; COMPUTE_PGM_RSRC2:TGID_Y_EN: 1
; COMPUTE_PGM_RSRC2:TGID_Z_EN: 0
; COMPUTE_PGM_RSRC2:TIDIG_COMP_CNT: 1
	.section	.text._ZN9rocsparseL31bsrmm_large_blockdim_kernel_extILj16ELj16ELj2EllDF16_DF16_ffEEvb20rocsparse_direction_T3_S2_llNS_24const_host_device_scalarIT7_EEPKT2_PKS2_PKT4_S2_PKT5_llS5_PT6_ll16rocsparse_order_21rocsparse_index_base_b,"axG",@progbits,_ZN9rocsparseL31bsrmm_large_blockdim_kernel_extILj16ELj16ELj2EllDF16_DF16_ffEEvb20rocsparse_direction_T3_S2_llNS_24const_host_device_scalarIT7_EEPKT2_PKS2_PKT4_S2_PKT5_llS5_PT6_ll16rocsparse_order_21rocsparse_index_base_b,comdat
	.globl	_ZN9rocsparseL31bsrmm_large_blockdim_kernel_extILj16ELj16ELj2EllDF16_DF16_ffEEvb20rocsparse_direction_T3_S2_llNS_24const_host_device_scalarIT7_EEPKT2_PKS2_PKT4_S2_PKT5_llS5_PT6_ll16rocsparse_order_21rocsparse_index_base_b ; -- Begin function _ZN9rocsparseL31bsrmm_large_blockdim_kernel_extILj16ELj16ELj2EllDF16_DF16_ffEEvb20rocsparse_direction_T3_S2_llNS_24const_host_device_scalarIT7_EEPKT2_PKS2_PKT4_S2_PKT5_llS5_PT6_ll16rocsparse_order_21rocsparse_index_base_b
	.p2align	8
	.type	_ZN9rocsparseL31bsrmm_large_blockdim_kernel_extILj16ELj16ELj2EllDF16_DF16_ffEEvb20rocsparse_direction_T3_S2_llNS_24const_host_device_scalarIT7_EEPKT2_PKS2_PKT4_S2_PKT5_llS5_PT6_ll16rocsparse_order_21rocsparse_index_base_b,@function
_ZN9rocsparseL31bsrmm_large_blockdim_kernel_extILj16ELj16ELj2EllDF16_DF16_ffEEvb20rocsparse_direction_T3_S2_llNS_24const_host_device_scalarIT7_EEPKT2_PKS2_PKT4_S2_PKT5_llS5_PT6_ll16rocsparse_order_21rocsparse_index_base_b: ; @_ZN9rocsparseL31bsrmm_large_blockdim_kernel_extILj16ELj16ELj2EllDF16_DF16_ffEEvb20rocsparse_direction_T3_S2_llNS_24const_host_device_scalarIT7_EEPKT2_PKS2_PKT4_S2_PKT5_llS5_PT6_ll16rocsparse_order_21rocsparse_index_base_b
; %bb.0:
	s_clause 0x2
	s_load_b96 s[16:18], s[0:1], 0x88
	s_load_b64 s[20:21], s[0:1], 0x28
	s_load_b64 s[22:23], s[0:1], 0x68
	s_wait_kmcnt 0x0
	s_bitcmp1_b32 s18, 0
	s_cselect_b32 s2, -1, 0
	s_delay_alu instid0(SALU_CYCLE_1)
	s_and_b32 vcc_lo, exec_lo, s2
	s_xor_b32 s2, s2, -1
	s_cbranch_vccnz .LBB58_2
; %bb.1:
	s_load_b32 s20, s[20:21], 0x0
.LBB58_2:
	s_and_not1_b32 vcc_lo, exec_lo, s2
	s_cbranch_vccnz .LBB58_4
; %bb.3:
	s_load_b32 s22, s[22:23], 0x0
.LBB58_4:
	s_wait_kmcnt 0x0
	s_cmp_eq_f32 s20, 0
	s_cselect_b32 s2, -1, 0
	s_cmp_eq_f32 s22, 1.0
	s_cselect_b32 s3, -1, 0
	s_delay_alu instid0(SALU_CYCLE_1) | instskip(NEXT) | instid1(SALU_CYCLE_1)
	s_and_b32 s2, s2, s3
	s_and_b32 vcc_lo, exec_lo, s2
	s_cbranch_vccnz .LBB58_48
; %bb.5:
	s_clause 0x1
	s_load_b128 s[4:7], s[0:1], 0x8
	s_load_b64 s[2:3], s[0:1], 0x30
	s_bfe_u32 s8, ttmp6, 0x4000c
	s_and_b32 s9, ttmp6, 15
	s_add_co_i32 s8, s8, 1
	s_mov_b64 s[24:25], 0
	s_mul_i32 s10, ttmp9, s8
	s_getreg_b32 s8, hwreg(HW_REG_IB_STS2, 6, 4)
	s_add_co_i32 s9, s9, s10
	s_cmp_eq_u32 s8, 0
	s_mov_b64 s[26:27], 0
	s_cselect_b32 s18, ttmp9, s9
	s_delay_alu instid0(SALU_CYCLE_1)
	s_ashr_i32 s19, s18, 31
	s_wait_kmcnt 0x0
	v_cmp_le_i64_e64 s9, s[4:5], s[18:19]
	v_cmp_gt_i64_e64 s21, s[4:5], s[18:19]
	s_and_b32 vcc_lo, exec_lo, s9
	s_cbranch_vccnz .LBB58_7
; %bb.6:
	s_lshl_b64 s[4:5], s[18:19], 3
	s_mov_b32 s11, 0
	s_add_nc_u64 s[4:5], s[2:3], s[4:5]
	s_mov_b32 s10, s17
	s_load_b64 s[4:5], s[4:5], 0x0
	s_wait_kmcnt 0x0
	s_sub_nc_u64 s[26:27], s[4:5], s[10:11]
.LBB58_7:
	s_and_not1_b32 vcc_lo, exec_lo, s21
	s_cbranch_vccnz .LBB58_9
; %bb.8:
	s_lshl_b64 s[4:5], s[18:19], 3
	s_delay_alu instid0(SALU_CYCLE_1)
	s_add_nc_u64 s[2:3], s[2:3], s[4:5]
	s_mov_b32 s5, 0
	s_load_b64 s[2:3], s[2:3], 0x8
	s_mov_b32 s4, s17
	s_wait_kmcnt 0x0
	s_sub_nc_u64 s[24:25], s[2:3], s[4:5]
.LBB58_9:
	s_bfe_u32 s2, ttmp6, 0x40010
	s_clause 0x1
	s_load_b64 s[28:29], s[0:1], 0x48
	s_load_b64 s[30:31], s[0:1], 0x70
	s_add_co_i32 s2, s2, 1
	s_bfe_u32 s3, ttmp6, 0x40004
	s_mul_i32 s2, ttmp7, s2
	v_bfe_u32 v4, v0, 10, 10
	s_add_co_i32 s3, s3, s2
	s_cmp_eq_u32 s8, 0
	v_and_b32_e32 v6, 0x3ff, v0
	s_cselect_b32 s2, ttmp7, s3
	v_cmp_ge_i64_e64 s5, s[26:27], s[24:25]
	v_lshl_add_u32 v2, s2, 5, v4
	v_mov_b32_e32 v3, 0
	s_mov_b32 s35, 0
	s_delay_alu instid0(VALU_DEP_1)
	v_dual_mov_b32 v7, v3 :: v_dual_add_nc_u32 v0, 16, v2
	v_mov_b32_e32 v1, v3
	v_cmp_gt_i64_e64 s3, s[6:7], v[2:3]
	s_and_b32 vcc_lo, exec_lo, s5
	s_wait_kmcnt 0x0
	v_cmp_gt_i64_e64 s2, s[28:29], v[6:7]
	v_cmp_gt_i64_e64 s4, s[6:7], v[0:1]
	s_cbranch_vccnz .LBB58_27
; %bb.10:
	v_dual_mov_b32 v5, v3 :: v_dual_lshlrev_b32 v23, 2, v6
	s_load_b128 s[8:11], s[0:1], 0x50
	v_mul_u64_e32 v[12:13], s[28:29], v[6:7]
	s_clause 0x1
	s_load_b128 s[12:15], s[0:1], 0x38
	s_load_b64 s[38:39], s[0:1], 0x0
	v_mul_u64_e32 v[14:15], s[28:29], v[4:5]
	v_cmp_gt_i64_e32 vcc_lo, s[28:29], v[4:5]
	v_dual_mov_b32 v17, v3 :: v_dual_lshlrev_b32 v16, 1, v6
	v_dual_mov_b32 v19, v3 :: v_dual_lshlrev_b32 v18, 1, v4
	v_lshl_add_u32 v24, v4, 2, 0x800
	v_dual_lshlrev_b32 v20, 6, v4 :: v_dual_lshlrev_b32 v25, 6, v6
	s_and_b32 s19, s2, vcc_lo
	v_cmp_gt_i64_e64 s23, s[28:29], 0
	v_mov_b64_e32 v[4:5], 0
	s_delay_alu instid0(VALU_DEP_3)
	v_dual_add_nc_u32 v23, v23, v20 :: v_dual_add_nc_u32 v24, v24, v25
	s_mul_u64 s[36:37], s[28:29], s[28:29]
	s_mov_b32 s34, s17
	s_wait_kmcnt 0x0
	v_mul_u64_e32 v[8:9], s[10:11], v[2:3]
	v_mul_u64_e32 v[10:11], s[10:11], v[0:1]
	s_bitcmp1_b32 s38, 0
	s_cselect_b32 s5, -1, 0
	s_cmp_eq_u32 s39, 0
	s_cselect_b32 vcc_lo, -1, 0
	s_and_b32 s17, s3, s23
	s_and_b32 s23, s4, s23
	v_lshl_add_u64 v[12:13], v[12:13], 1, s[14:15]
	v_lshl_add_u64 v[14:15], v[14:15], 1, s[14:15]
	s_delay_alu instid0(VALU_DEP_2) | instskip(SKIP_1) | instid1(VALU_DEP_3)
	v_add_nc_u64_e32 v[18:19], v[12:13], v[18:19]
	v_add_nc_u64_e32 v[12:13], s[8:9], v[16:17]
	;; [unrolled: 1-line block ×3, first 2 shown]
	v_add_nc_u32_e32 v21, 0x800, v25
	s_delay_alu instid0(VALU_DEP_2) | instskip(NEXT) | instid1(VALU_DEP_3)
	v_dual_cndmask_b32 v15, v15, v19 :: v_dual_add_nc_u32 v22, 0x400, v20
	v_cndmask_b32_e32 v14, v14, v18, vcc_lo
	s_branch .LBB58_13
.LBB58_11:                              ;   in Loop: Header=BB58_13 Depth=1
	s_or_b32 exec_lo, exec_lo, s38
.LBB58_12:                              ;   in Loop: Header=BB58_13 Depth=1
	s_delay_alu instid0(SALU_CYCLE_1) | instskip(SKIP_1) | instid1(SALU_CYCLE_1)
	s_or_b32 exec_lo, exec_lo, s33
	s_add_nc_u64 s[26:27], s[26:27], 1
	v_cmp_ge_i64_e64 s14, s[26:27], s[24:25]
	s_barrier_signal -1
	s_barrier_wait -1
	s_and_b32 vcc_lo, exec_lo, s14
	s_cbranch_vccnz .LBB58_28
.LBB58_13:                              ; =>This Loop Header: Depth=1
                                        ;     Child Loop BB58_23 Depth 2
                                        ;     Child Loop BB58_26 Depth 2
	s_and_saveexec_b32 s14, s2
	s_cbranch_execz .LBB58_18
; %bb.14:                               ;   in Loop: Header=BB58_13 Depth=1
	s_lshl_b64 s[38:39], s[26:27], 3
	s_delay_alu instid0(SALU_CYCLE_1) | instskip(SKIP_3) | instid1(SALU_CYCLE_1)
	s_add_nc_u64 s[38:39], s[12:13], s[38:39]
	s_load_b64 s[38:39], s[38:39], 0x0
	s_wait_kmcnt 0x0
	s_sub_nc_u64 s[38:39], s[38:39], s[34:35]
	s_mul_u64 s[38:39], s[38:39], s[28:29]
	s_delay_alu instid0(SALU_CYCLE_1) | instskip(SKIP_1) | instid1(VALU_DEP_2)
	v_add_nc_u64_e32 v[16:17], s[38:39], v[6:7]
	v_lshl_add_u64 v[18:19], s[38:39], 1, v[12:13]
	v_mul_u64_e32 v[16:17], s[10:11], v[16:17]
	s_delay_alu instid0(VALU_DEP_1)
	v_lshl_add_u64 v[16:17], v[16:17], 1, s[8:9]
	s_and_saveexec_b32 s15, s3
	s_cbranch_execz .LBB58_16
; %bb.15:                               ;   in Loop: Header=BB58_13 Depth=1
	s_delay_alu instid0(VALU_DEP_1) | instskip(SKIP_1) | instid1(VALU_DEP_1)
	v_lshl_add_u64 v[26:27], v[2:3], 1, v[16:17]
	v_lshl_add_u64 v[28:29], v[8:9], 1, v[18:19]
	v_dual_cndmask_b32 v27, v27, v29, s5 :: v_dual_cndmask_b32 v26, v26, v28, s5
	global_load_u16 v25, v[26:27], off
	s_wait_loadcnt 0x0
	v_cvt_f32_f16_e32 v25, v25
	ds_store_b32 v23, v25
.LBB58_16:                              ;   in Loop: Header=BB58_13 Depth=1
	s_or_b32 exec_lo, exec_lo, s15
	s_delay_alu instid0(SALU_CYCLE_1)
	s_and_b32 exec_lo, exec_lo, s4
	s_cbranch_execz .LBB58_18
; %bb.17:                               ;   in Loop: Header=BB58_13 Depth=1
	v_lshl_add_u64 v[18:19], v[10:11], 1, v[18:19]
	v_lshl_add_u64 v[16:17], v[0:1], 1, v[16:17]
	s_delay_alu instid0(VALU_DEP_1)
	v_dual_cndmask_b32 v17, v17, v19, s5 :: v_dual_cndmask_b32 v16, v16, v18, s5
	global_load_u16 v16, v[16:17], off
	s_wait_loadcnt 0x0
	v_cvt_f32_f16_e32 v16, v16
	ds_store_b32 v23, v16 offset:1024
.LBB58_18:                              ;   in Loop: Header=BB58_13 Depth=1
	s_or_b32 exec_lo, exec_lo, s14
	s_and_saveexec_b32 s14, s19
	s_cbranch_execz .LBB58_20
; %bb.19:                               ;   in Loop: Header=BB58_13 Depth=1
	s_mul_u64 s[38:39], s[36:37], s[26:27]
	s_delay_alu instid0(SALU_CYCLE_1)
	v_lshl_add_u64 v[16:17], s[38:39], 1, v[14:15]
	global_load_u16 v16, v[16:17], off
	s_wait_loadcnt 0x0
	v_cvt_f32_f16_e32 v16, v16
	ds_store_b32 v24, v16
.LBB58_20:                              ;   in Loop: Header=BB58_13 Depth=1
	s_or_b32 exec_lo, exec_lo, s14
	s_wait_dscnt 0x0
	s_barrier_signal -1
	s_barrier_wait -1
	s_and_saveexec_b32 s33, s2
	s_cbranch_execz .LBB58_12
; %bb.21:                               ;   in Loop: Header=BB58_13 Depth=1
	s_and_saveexec_b32 s38, s17
	s_cbranch_execz .LBB58_24
; %bb.22:                               ;   in Loop: Header=BB58_13 Depth=1
	v_dual_mov_b32 v16, v21 :: v_dual_mov_b32 v17, v20
	s_mov_b64 s[14:15], s[28:29]
.LBB58_23:                              ;   Parent Loop BB58_13 Depth=1
                                        ; =>  This Inner Loop Header: Depth=2
	ds_load_b32 v18, v16
	ds_load_b32 v19, v17
	v_dual_add_nc_u32 v17, 4, v17 :: v_dual_add_nc_u32 v16, 4, v16
	s_add_nc_u64 s[14:15], s[14:15], -1
	s_delay_alu instid0(SALU_CYCLE_1)
	s_cmp_lg_u64 s[14:15], 0
	s_wait_dscnt 0x0
	v_fma_f32 v4, v18, v19, v4
	s_cbranch_scc1 .LBB58_23
.LBB58_24:                              ;   in Loop: Header=BB58_13 Depth=1
	s_or_b32 exec_lo, exec_lo, s38
	s_and_saveexec_b32 s38, s23
	s_cbranch_execz .LBB58_11
; %bb.25:                               ;   in Loop: Header=BB58_13 Depth=1
	v_dual_mov_b32 v16, v21 :: v_dual_mov_b32 v17, v22
	s_mov_b64 s[14:15], s[28:29]
.LBB58_26:                              ;   Parent Loop BB58_13 Depth=1
                                        ; =>  This Inner Loop Header: Depth=2
	ds_load_b32 v18, v16
	ds_load_b32 v19, v17
	v_dual_add_nc_u32 v17, 4, v17 :: v_dual_add_nc_u32 v16, 4, v16
	s_add_nc_u64 s[14:15], s[14:15], -1
	s_delay_alu instid0(SALU_CYCLE_1)
	s_cmp_lg_u64 s[14:15], 0
	s_wait_dscnt 0x0
	v_fma_f32 v5, v18, v19, v5
	s_cbranch_scc1 .LBB58_26
	s_branch .LBB58_11
.LBB58_27:
	v_mov_b64_e32 v[4:5], 0
.LBB58_28:
	s_and_b32 s2, s21, s2
	s_delay_alu instid0(SALU_CYCLE_1)
	s_and_saveexec_b32 s3, s2
	s_cbranch_execz .LBB58_48
; %bb.29:
	v_mad_nc_u64_u32 v[6:7], s28, s18, v[6:7]
	s_load_b64 s[2:3], s[0:1], 0x78
	s_cmp_neq_f32 s22, 0
	s_wait_xcnt 0x0
	s_mov_b32 s0, exec_lo
	s_cselect_b32 s4, -1, 0
	s_cmp_lg_u32 s16, 1
	s_cselect_b32 s1, -1, 0
	s_delay_alu instid0(VALU_DEP_1) | instskip(SKIP_1) | instid1(VALU_DEP_1)
	v_mad_u32 v7, s29, s18, v7
	s_wait_kmcnt 0x0
	v_mul_u64_e32 v[8:9], s[2:3], v[6:7]
	v_lshl_add_u64 v[6:7], v[6:7], 2, s[30:31]
	s_delay_alu instid0(VALU_DEP_2)
	v_lshl_add_u64 v[8:9], v[8:9], 2, s[30:31]
	v_cmpx_gt_i64_e64 s[6:7], v[2:3]
	s_cbranch_execz .LBB58_41
; %bb.30:
	s_and_b32 vcc_lo, exec_lo, s4
	s_cbranch_vccz .LBB58_36
; %bb.31:
	s_and_b32 vcc_lo, exec_lo, s1
	s_mov_b32 s5, -1
	s_cbranch_vccz .LBB58_33
; %bb.32:
	v_lshl_add_u64 v[10:11], v[2:3], 2, v[8:9]
	v_mul_f32_e32 v13, s20, v4
	s_mov_b32 s5, 0
	global_load_b32 v12, v[10:11], off
	s_wait_loadcnt 0x0
	v_fmac_f32_e32 v13, s22, v12
	global_store_b32 v[10:11], v13, off
.LBB58_33:
	s_and_not1_b32 vcc_lo, exec_lo, s5
	s_cbranch_vccnz .LBB58_35
; %bb.34:
	s_wait_xcnt 0x0
	v_mul_u64_e32 v[10:11], s[2:3], v[2:3]
	v_mul_f32_e32 v13, s20, v4
	s_delay_alu instid0(VALU_DEP_2)
	v_lshl_add_u64 v[10:11], v[10:11], 2, v[6:7]
	global_load_b32 v12, v[10:11], off
	s_wait_loadcnt 0x0
	v_fmac_f32_e32 v13, s22, v12
	global_store_b32 v[10:11], v13, off
.LBB58_35:
	s_cbranch_execz .LBB58_37
	s_branch .LBB58_41
.LBB58_36:
.LBB58_37:
	v_mul_f32_e32 v4, s20, v4
	s_and_b32 vcc_lo, exec_lo, s1
	s_mov_b32 s5, -1
	s_cbranch_vccz .LBB58_39
; %bb.38:
	s_wait_xcnt 0x0
	v_lshl_add_u64 v[10:11], v[2:3], 2, v[8:9]
	s_mov_b32 s5, 0
	global_store_b32 v[10:11], v4, off
.LBB58_39:
	s_and_not1_b32 vcc_lo, exec_lo, s5
	s_cbranch_vccnz .LBB58_41
; %bb.40:
	v_mul_u64_e32 v[2:3], s[2:3], v[2:3]
	s_delay_alu instid0(VALU_DEP_1)
	v_lshl_add_u64 v[2:3], v[2:3], 2, v[6:7]
	global_store_b32 v[2:3], v4, off
.LBB58_41:
	s_wait_xcnt 0x0
	s_or_b32 exec_lo, exec_lo, s0
	v_cmp_gt_i64_e32 vcc_lo, s[6:7], v[0:1]
	s_and_b32 exec_lo, exec_lo, vcc_lo
	s_cbranch_execz .LBB58_48
; %bb.42:
	v_cndmask_b32_e64 v2, 0, 1, s1
	s_and_not1_b32 vcc_lo, exec_lo, s4
	s_delay_alu instid0(VALU_DEP_1)
	v_cmp_ne_u32_e64 s0, 1, v2
	s_cbranch_vccnz .LBB58_49
; %bb.43:
	s_and_b32 vcc_lo, exec_lo, s0
	s_mov_b32 s0, -1
	s_cbranch_vccnz .LBB58_45
; %bb.44:
	v_lshl_add_u64 v[2:3], v[0:1], 2, v[8:9]
	v_mul_f32_e32 v10, s20, v5
	s_mov_b32 s0, 0
	global_load_b32 v4, v[2:3], off
	s_wait_loadcnt 0x0
	v_fmac_f32_e32 v10, s22, v4
	global_store_b32 v[2:3], v10, off
.LBB58_45:
	s_and_not1_b32 vcc_lo, exec_lo, s0
	s_cbranch_vccnz .LBB58_47
; %bb.46:
	s_wait_xcnt 0x0
	v_mul_u64_e32 v[2:3], s[2:3], v[0:1]
	v_mul_f32_e32 v10, s20, v5
	s_delay_alu instid0(VALU_DEP_2)
	v_lshl_add_u64 v[2:3], v[2:3], 2, v[6:7]
	global_load_b32 v4, v[2:3], off
	s_wait_loadcnt 0x0
	v_fmac_f32_e32 v10, s22, v4
	global_store_b32 v[2:3], v10, off
.LBB58_47:
	s_cbranch_execz .LBB58_50
.LBB58_48:
	s_endpgm
.LBB58_49:
.LBB58_50:
	s_wait_xcnt 0x0
	v_mul_f32_e32 v2, s20, v5
	s_and_not1_b32 vcc_lo, exec_lo, s1
	s_mov_b32 s0, -1
	s_cbranch_vccnz .LBB58_52
; %bb.51:
	v_lshl_add_u64 v[4:5], v[0:1], 2, v[8:9]
	s_mov_b32 s0, 0
	global_store_b32 v[4:5], v2, off
.LBB58_52:
	s_and_not1_b32 vcc_lo, exec_lo, s0
	s_cbranch_vccnz .LBB58_48
; %bb.53:
	v_mul_u64_e32 v[0:1], s[2:3], v[0:1]
	s_delay_alu instid0(VALU_DEP_1)
	v_lshl_add_u64 v[0:1], v[0:1], 2, v[6:7]
	global_store_b32 v[0:1], v2, off
	s_endpgm
	.section	.rodata,"a",@progbits
	.p2align	6, 0x0
	.amdhsa_kernel _ZN9rocsparseL31bsrmm_large_blockdim_kernel_extILj16ELj16ELj2EllDF16_DF16_ffEEvb20rocsparse_direction_T3_S2_llNS_24const_host_device_scalarIT7_EEPKT2_PKS2_PKT4_S2_PKT5_llS5_PT6_ll16rocsparse_order_21rocsparse_index_base_b
		.amdhsa_group_segment_fixed_size 3072
		.amdhsa_private_segment_fixed_size 0
		.amdhsa_kernarg_size 148
		.amdhsa_user_sgpr_count 2
		.amdhsa_user_sgpr_dispatch_ptr 0
		.amdhsa_user_sgpr_queue_ptr 0
		.amdhsa_user_sgpr_kernarg_segment_ptr 1
		.amdhsa_user_sgpr_dispatch_id 0
		.amdhsa_user_sgpr_kernarg_preload_length 0
		.amdhsa_user_sgpr_kernarg_preload_offset 0
		.amdhsa_user_sgpr_private_segment_size 0
		.amdhsa_wavefront_size32 1
		.amdhsa_uses_dynamic_stack 0
		.amdhsa_enable_private_segment 0
		.amdhsa_system_sgpr_workgroup_id_x 1
		.amdhsa_system_sgpr_workgroup_id_y 1
		.amdhsa_system_sgpr_workgroup_id_z 0
		.amdhsa_system_sgpr_workgroup_info 0
		.amdhsa_system_vgpr_workitem_id 1
		.amdhsa_next_free_vgpr 30
		.amdhsa_next_free_sgpr 40
		.amdhsa_named_barrier_count 0
		.amdhsa_reserve_vcc 1
		.amdhsa_float_round_mode_32 0
		.amdhsa_float_round_mode_16_64 0
		.amdhsa_float_denorm_mode_32 3
		.amdhsa_float_denorm_mode_16_64 3
		.amdhsa_fp16_overflow 0
		.amdhsa_memory_ordered 1
		.amdhsa_forward_progress 1
		.amdhsa_inst_pref_size 14
		.amdhsa_round_robin_scheduling 0
		.amdhsa_exception_fp_ieee_invalid_op 0
		.amdhsa_exception_fp_denorm_src 0
		.amdhsa_exception_fp_ieee_div_zero 0
		.amdhsa_exception_fp_ieee_overflow 0
		.amdhsa_exception_fp_ieee_underflow 0
		.amdhsa_exception_fp_ieee_inexact 0
		.amdhsa_exception_int_div_zero 0
	.end_amdhsa_kernel
	.section	.text._ZN9rocsparseL31bsrmm_large_blockdim_kernel_extILj16ELj16ELj2EllDF16_DF16_ffEEvb20rocsparse_direction_T3_S2_llNS_24const_host_device_scalarIT7_EEPKT2_PKS2_PKT4_S2_PKT5_llS5_PT6_ll16rocsparse_order_21rocsparse_index_base_b,"axG",@progbits,_ZN9rocsparseL31bsrmm_large_blockdim_kernel_extILj16ELj16ELj2EllDF16_DF16_ffEEvb20rocsparse_direction_T3_S2_llNS_24const_host_device_scalarIT7_EEPKT2_PKS2_PKT4_S2_PKT5_llS5_PT6_ll16rocsparse_order_21rocsparse_index_base_b,comdat
.Lfunc_end58:
	.size	_ZN9rocsparseL31bsrmm_large_blockdim_kernel_extILj16ELj16ELj2EllDF16_DF16_ffEEvb20rocsparse_direction_T3_S2_llNS_24const_host_device_scalarIT7_EEPKT2_PKS2_PKT4_S2_PKT5_llS5_PT6_ll16rocsparse_order_21rocsparse_index_base_b, .Lfunc_end58-_ZN9rocsparseL31bsrmm_large_blockdim_kernel_extILj16ELj16ELj2EllDF16_DF16_ffEEvb20rocsparse_direction_T3_S2_llNS_24const_host_device_scalarIT7_EEPKT2_PKS2_PKT4_S2_PKT5_llS5_PT6_ll16rocsparse_order_21rocsparse_index_base_b
                                        ; -- End function
	.set _ZN9rocsparseL31bsrmm_large_blockdim_kernel_extILj16ELj16ELj2EllDF16_DF16_ffEEvb20rocsparse_direction_T3_S2_llNS_24const_host_device_scalarIT7_EEPKT2_PKS2_PKT4_S2_PKT5_llS5_PT6_ll16rocsparse_order_21rocsparse_index_base_b.num_vgpr, 30
	.set _ZN9rocsparseL31bsrmm_large_blockdim_kernel_extILj16ELj16ELj2EllDF16_DF16_ffEEvb20rocsparse_direction_T3_S2_llNS_24const_host_device_scalarIT7_EEPKT2_PKS2_PKT4_S2_PKT5_llS5_PT6_ll16rocsparse_order_21rocsparse_index_base_b.num_agpr, 0
	.set _ZN9rocsparseL31bsrmm_large_blockdim_kernel_extILj16ELj16ELj2EllDF16_DF16_ffEEvb20rocsparse_direction_T3_S2_llNS_24const_host_device_scalarIT7_EEPKT2_PKS2_PKT4_S2_PKT5_llS5_PT6_ll16rocsparse_order_21rocsparse_index_base_b.numbered_sgpr, 40
	.set _ZN9rocsparseL31bsrmm_large_blockdim_kernel_extILj16ELj16ELj2EllDF16_DF16_ffEEvb20rocsparse_direction_T3_S2_llNS_24const_host_device_scalarIT7_EEPKT2_PKS2_PKT4_S2_PKT5_llS5_PT6_ll16rocsparse_order_21rocsparse_index_base_b.num_named_barrier, 0
	.set _ZN9rocsparseL31bsrmm_large_blockdim_kernel_extILj16ELj16ELj2EllDF16_DF16_ffEEvb20rocsparse_direction_T3_S2_llNS_24const_host_device_scalarIT7_EEPKT2_PKS2_PKT4_S2_PKT5_llS5_PT6_ll16rocsparse_order_21rocsparse_index_base_b.private_seg_size, 0
	.set _ZN9rocsparseL31bsrmm_large_blockdim_kernel_extILj16ELj16ELj2EllDF16_DF16_ffEEvb20rocsparse_direction_T3_S2_llNS_24const_host_device_scalarIT7_EEPKT2_PKS2_PKT4_S2_PKT5_llS5_PT6_ll16rocsparse_order_21rocsparse_index_base_b.uses_vcc, 1
	.set _ZN9rocsparseL31bsrmm_large_blockdim_kernel_extILj16ELj16ELj2EllDF16_DF16_ffEEvb20rocsparse_direction_T3_S2_llNS_24const_host_device_scalarIT7_EEPKT2_PKS2_PKT4_S2_PKT5_llS5_PT6_ll16rocsparse_order_21rocsparse_index_base_b.uses_flat_scratch, 0
	.set _ZN9rocsparseL31bsrmm_large_blockdim_kernel_extILj16ELj16ELj2EllDF16_DF16_ffEEvb20rocsparse_direction_T3_S2_llNS_24const_host_device_scalarIT7_EEPKT2_PKS2_PKT4_S2_PKT5_llS5_PT6_ll16rocsparse_order_21rocsparse_index_base_b.has_dyn_sized_stack, 0
	.set _ZN9rocsparseL31bsrmm_large_blockdim_kernel_extILj16ELj16ELj2EllDF16_DF16_ffEEvb20rocsparse_direction_T3_S2_llNS_24const_host_device_scalarIT7_EEPKT2_PKS2_PKT4_S2_PKT5_llS5_PT6_ll16rocsparse_order_21rocsparse_index_base_b.has_recursion, 0
	.set _ZN9rocsparseL31bsrmm_large_blockdim_kernel_extILj16ELj16ELj2EllDF16_DF16_ffEEvb20rocsparse_direction_T3_S2_llNS_24const_host_device_scalarIT7_EEPKT2_PKS2_PKT4_S2_PKT5_llS5_PT6_ll16rocsparse_order_21rocsparse_index_base_b.has_indirect_call, 0
	.section	.AMDGPU.csdata,"",@progbits
; Kernel info:
; codeLenInByte = 1764
; TotalNumSgprs: 42
; NumVgprs: 30
; ScratchSize: 0
; MemoryBound: 0
; FloatMode: 240
; IeeeMode: 1
; LDSByteSize: 3072 bytes/workgroup (compile time only)
; SGPRBlocks: 0
; VGPRBlocks: 1
; NumSGPRsForWavesPerEU: 42
; NumVGPRsForWavesPerEU: 30
; NamedBarCnt: 0
; Occupancy: 16
; WaveLimiterHint : 1
; COMPUTE_PGM_RSRC2:SCRATCH_EN: 0
; COMPUTE_PGM_RSRC2:USER_SGPR: 2
; COMPUTE_PGM_RSRC2:TRAP_HANDLER: 0
; COMPUTE_PGM_RSRC2:TGID_X_EN: 1
; COMPUTE_PGM_RSRC2:TGID_Y_EN: 1
; COMPUTE_PGM_RSRC2:TGID_Z_EN: 0
; COMPUTE_PGM_RSRC2:TIDIG_COMP_CNT: 1
	.section	.text._ZN9rocsparseL31bsrmm_large_blockdim_kernel_extILj32ELj32ELj2EllDF16_DF16_ffEEvb20rocsparse_direction_T3_S2_llNS_24const_host_device_scalarIT7_EEPKT2_PKS2_PKT4_S2_PKT5_llS5_PT6_ll16rocsparse_order_21rocsparse_index_base_b,"axG",@progbits,_ZN9rocsparseL31bsrmm_large_blockdim_kernel_extILj32ELj32ELj2EllDF16_DF16_ffEEvb20rocsparse_direction_T3_S2_llNS_24const_host_device_scalarIT7_EEPKT2_PKS2_PKT4_S2_PKT5_llS5_PT6_ll16rocsparse_order_21rocsparse_index_base_b,comdat
	.globl	_ZN9rocsparseL31bsrmm_large_blockdim_kernel_extILj32ELj32ELj2EllDF16_DF16_ffEEvb20rocsparse_direction_T3_S2_llNS_24const_host_device_scalarIT7_EEPKT2_PKS2_PKT4_S2_PKT5_llS5_PT6_ll16rocsparse_order_21rocsparse_index_base_b ; -- Begin function _ZN9rocsparseL31bsrmm_large_blockdim_kernel_extILj32ELj32ELj2EllDF16_DF16_ffEEvb20rocsparse_direction_T3_S2_llNS_24const_host_device_scalarIT7_EEPKT2_PKS2_PKT4_S2_PKT5_llS5_PT6_ll16rocsparse_order_21rocsparse_index_base_b
	.p2align	8
	.type	_ZN9rocsparseL31bsrmm_large_blockdim_kernel_extILj32ELj32ELj2EllDF16_DF16_ffEEvb20rocsparse_direction_T3_S2_llNS_24const_host_device_scalarIT7_EEPKT2_PKS2_PKT4_S2_PKT5_llS5_PT6_ll16rocsparse_order_21rocsparse_index_base_b,@function
_ZN9rocsparseL31bsrmm_large_blockdim_kernel_extILj32ELj32ELj2EllDF16_DF16_ffEEvb20rocsparse_direction_T3_S2_llNS_24const_host_device_scalarIT7_EEPKT2_PKS2_PKT4_S2_PKT5_llS5_PT6_ll16rocsparse_order_21rocsparse_index_base_b: ; @_ZN9rocsparseL31bsrmm_large_blockdim_kernel_extILj32ELj32ELj2EllDF16_DF16_ffEEvb20rocsparse_direction_T3_S2_llNS_24const_host_device_scalarIT7_EEPKT2_PKS2_PKT4_S2_PKT5_llS5_PT6_ll16rocsparse_order_21rocsparse_index_base_b
; %bb.0:
	s_clause 0x2
	s_load_b96 s[16:18], s[0:1], 0x88
	s_load_b64 s[20:21], s[0:1], 0x28
	s_load_b64 s[22:23], s[0:1], 0x68
	s_wait_kmcnt 0x0
	s_bitcmp1_b32 s18, 0
	s_cselect_b32 s2, -1, 0
	s_delay_alu instid0(SALU_CYCLE_1)
	s_and_b32 vcc_lo, exec_lo, s2
	s_xor_b32 s2, s2, -1
	s_cbranch_vccnz .LBB59_2
; %bb.1:
	s_load_b32 s20, s[20:21], 0x0
.LBB59_2:
	s_and_not1_b32 vcc_lo, exec_lo, s2
	s_cbranch_vccnz .LBB59_4
; %bb.3:
	s_load_b32 s22, s[22:23], 0x0
.LBB59_4:
	s_wait_kmcnt 0x0
	s_cmp_eq_f32 s20, 0
	s_cselect_b32 s2, -1, 0
	s_cmp_eq_f32 s22, 1.0
	s_cselect_b32 s3, -1, 0
	s_delay_alu instid0(SALU_CYCLE_1) | instskip(NEXT) | instid1(SALU_CYCLE_1)
	s_and_b32 s2, s2, s3
	s_and_b32 vcc_lo, exec_lo, s2
	s_cbranch_vccnz .LBB59_48
; %bb.5:
	s_clause 0x1
	s_load_b128 s[4:7], s[0:1], 0x8
	s_load_b64 s[2:3], s[0:1], 0x30
	s_bfe_u32 s8, ttmp6, 0x4000c
	s_and_b32 s9, ttmp6, 15
	s_add_co_i32 s8, s8, 1
	s_mov_b64 s[24:25], 0
	s_mul_i32 s10, ttmp9, s8
	s_getreg_b32 s8, hwreg(HW_REG_IB_STS2, 6, 4)
	s_add_co_i32 s9, s9, s10
	s_cmp_eq_u32 s8, 0
	s_mov_b64 s[26:27], 0
	s_cselect_b32 s18, ttmp9, s9
	s_delay_alu instid0(SALU_CYCLE_1)
	s_ashr_i32 s19, s18, 31
	s_wait_kmcnt 0x0
	v_cmp_le_i64_e64 s9, s[4:5], s[18:19]
	v_cmp_gt_i64_e64 s21, s[4:5], s[18:19]
	s_and_b32 vcc_lo, exec_lo, s9
	s_cbranch_vccnz .LBB59_7
; %bb.6:
	s_lshl_b64 s[4:5], s[18:19], 3
	s_mov_b32 s11, 0
	s_add_nc_u64 s[4:5], s[2:3], s[4:5]
	s_mov_b32 s10, s17
	s_load_b64 s[4:5], s[4:5], 0x0
	s_wait_kmcnt 0x0
	s_sub_nc_u64 s[26:27], s[4:5], s[10:11]
.LBB59_7:
	s_and_not1_b32 vcc_lo, exec_lo, s21
	s_cbranch_vccnz .LBB59_9
; %bb.8:
	s_lshl_b64 s[4:5], s[18:19], 3
	s_delay_alu instid0(SALU_CYCLE_1)
	s_add_nc_u64 s[2:3], s[2:3], s[4:5]
	s_mov_b32 s5, 0
	s_load_b64 s[2:3], s[2:3], 0x8
	s_mov_b32 s4, s17
	s_wait_kmcnt 0x0
	s_sub_nc_u64 s[24:25], s[2:3], s[4:5]
.LBB59_9:
	s_bfe_u32 s2, ttmp6, 0x40010
	s_clause 0x1
	s_load_b64 s[28:29], s[0:1], 0x48
	s_load_b64 s[30:31], s[0:1], 0x70
	s_add_co_i32 s2, s2, 1
	s_bfe_u32 s3, ttmp6, 0x40004
	s_mul_i32 s2, ttmp7, s2
	v_bfe_u32 v4, v0, 10, 10
	s_add_co_i32 s3, s3, s2
	s_cmp_eq_u32 s8, 0
	v_and_b32_e32 v6, 0x3ff, v0
	s_cselect_b32 s2, ttmp7, s3
	v_cmp_ge_i64_e64 s5, s[26:27], s[24:25]
	v_lshl_add_u32 v2, s2, 6, v4
	v_mov_b32_e32 v3, 0
	s_mov_b32 s35, 0
	s_delay_alu instid0(VALU_DEP_1)
	v_dual_mov_b32 v7, v3 :: v_dual_add_nc_u32 v0, 32, v2
	v_mov_b32_e32 v1, v3
	v_cmp_gt_i64_e64 s3, s[6:7], v[2:3]
	s_and_b32 vcc_lo, exec_lo, s5
	s_wait_kmcnt 0x0
	v_cmp_gt_i64_e64 s2, s[28:29], v[6:7]
	v_cmp_gt_i64_e64 s4, s[6:7], v[0:1]
	s_cbranch_vccnz .LBB59_27
; %bb.10:
	v_dual_mov_b32 v5, v3 :: v_dual_lshlrev_b32 v23, 2, v6
	s_load_b128 s[8:11], s[0:1], 0x50
	v_mul_u64_e32 v[12:13], s[28:29], v[6:7]
	s_clause 0x1
	s_load_b128 s[12:15], s[0:1], 0x38
	s_load_b64 s[38:39], s[0:1], 0x0
	v_mul_u64_e32 v[14:15], s[28:29], v[4:5]
	v_cmp_gt_i64_e32 vcc_lo, s[28:29], v[4:5]
	v_dual_mov_b32 v17, v3 :: v_dual_lshlrev_b32 v16, 1, v6
	v_dual_mov_b32 v19, v3 :: v_dual_lshlrev_b32 v18, 1, v4
	v_lshl_add_u32 v24, v4, 2, 0x2000
	v_dual_lshlrev_b32 v20, 7, v4 :: v_dual_lshlrev_b32 v25, 7, v6
	s_and_b32 s19, s2, vcc_lo
	v_cmp_gt_i64_e64 s23, s[28:29], 0
	v_mov_b64_e32 v[4:5], 0
	s_delay_alu instid0(VALU_DEP_3)
	v_dual_add_nc_u32 v23, v23, v20 :: v_dual_add_nc_u32 v24, v24, v25
	s_mul_u64 s[36:37], s[28:29], s[28:29]
	s_mov_b32 s34, s17
	s_wait_kmcnt 0x0
	v_mul_u64_e32 v[8:9], s[10:11], v[2:3]
	v_mul_u64_e32 v[10:11], s[10:11], v[0:1]
	s_bitcmp1_b32 s38, 0
	s_cselect_b32 s5, -1, 0
	s_cmp_eq_u32 s39, 0
	s_cselect_b32 vcc_lo, -1, 0
	s_and_b32 s17, s3, s23
	s_and_b32 s23, s4, s23
	v_lshl_add_u64 v[12:13], v[12:13], 1, s[14:15]
	v_lshl_add_u64 v[14:15], v[14:15], 1, s[14:15]
	s_delay_alu instid0(VALU_DEP_2) | instskip(SKIP_1) | instid1(VALU_DEP_3)
	v_add_nc_u64_e32 v[18:19], v[12:13], v[18:19]
	v_add_nc_u64_e32 v[12:13], s[8:9], v[16:17]
	;; [unrolled: 1-line block ×3, first 2 shown]
	v_add_nc_u32_e32 v21, 0x2000, v25
	s_delay_alu instid0(VALU_DEP_2) | instskip(NEXT) | instid1(VALU_DEP_3)
	v_dual_cndmask_b32 v15, v15, v19 :: v_dual_add_nc_u32 v22, 0x1000, v20
	v_cndmask_b32_e32 v14, v14, v18, vcc_lo
	s_branch .LBB59_13
.LBB59_11:                              ;   in Loop: Header=BB59_13 Depth=1
	s_or_b32 exec_lo, exec_lo, s38
.LBB59_12:                              ;   in Loop: Header=BB59_13 Depth=1
	s_delay_alu instid0(SALU_CYCLE_1) | instskip(SKIP_1) | instid1(SALU_CYCLE_1)
	s_or_b32 exec_lo, exec_lo, s33
	s_add_nc_u64 s[26:27], s[26:27], 1
	v_cmp_ge_i64_e64 s14, s[26:27], s[24:25]
	s_barrier_signal -1
	s_barrier_wait -1
	s_and_b32 vcc_lo, exec_lo, s14
	s_cbranch_vccnz .LBB59_28
.LBB59_13:                              ; =>This Loop Header: Depth=1
                                        ;     Child Loop BB59_23 Depth 2
                                        ;     Child Loop BB59_26 Depth 2
	s_and_saveexec_b32 s14, s2
	s_cbranch_execz .LBB59_18
; %bb.14:                               ;   in Loop: Header=BB59_13 Depth=1
	s_lshl_b64 s[38:39], s[26:27], 3
	s_delay_alu instid0(SALU_CYCLE_1) | instskip(SKIP_3) | instid1(SALU_CYCLE_1)
	s_add_nc_u64 s[38:39], s[12:13], s[38:39]
	s_load_b64 s[38:39], s[38:39], 0x0
	s_wait_kmcnt 0x0
	s_sub_nc_u64 s[38:39], s[38:39], s[34:35]
	s_mul_u64 s[38:39], s[38:39], s[28:29]
	s_delay_alu instid0(SALU_CYCLE_1) | instskip(SKIP_1) | instid1(VALU_DEP_2)
	v_add_nc_u64_e32 v[16:17], s[38:39], v[6:7]
	v_lshl_add_u64 v[18:19], s[38:39], 1, v[12:13]
	v_mul_u64_e32 v[16:17], s[10:11], v[16:17]
	s_delay_alu instid0(VALU_DEP_1)
	v_lshl_add_u64 v[16:17], v[16:17], 1, s[8:9]
	s_and_saveexec_b32 s15, s3
	s_cbranch_execz .LBB59_16
; %bb.15:                               ;   in Loop: Header=BB59_13 Depth=1
	s_delay_alu instid0(VALU_DEP_1) | instskip(SKIP_1) | instid1(VALU_DEP_1)
	v_lshl_add_u64 v[26:27], v[2:3], 1, v[16:17]
	v_lshl_add_u64 v[28:29], v[8:9], 1, v[18:19]
	v_dual_cndmask_b32 v27, v27, v29, s5 :: v_dual_cndmask_b32 v26, v26, v28, s5
	global_load_u16 v25, v[26:27], off
	s_wait_loadcnt 0x0
	v_cvt_f32_f16_e32 v25, v25
	ds_store_b32 v23, v25
.LBB59_16:                              ;   in Loop: Header=BB59_13 Depth=1
	s_or_b32 exec_lo, exec_lo, s15
	s_delay_alu instid0(SALU_CYCLE_1)
	s_and_b32 exec_lo, exec_lo, s4
	s_cbranch_execz .LBB59_18
; %bb.17:                               ;   in Loop: Header=BB59_13 Depth=1
	v_lshl_add_u64 v[18:19], v[10:11], 1, v[18:19]
	v_lshl_add_u64 v[16:17], v[0:1], 1, v[16:17]
	s_delay_alu instid0(VALU_DEP_1)
	v_dual_cndmask_b32 v17, v17, v19, s5 :: v_dual_cndmask_b32 v16, v16, v18, s5
	global_load_u16 v16, v[16:17], off
	s_wait_loadcnt 0x0
	v_cvt_f32_f16_e32 v16, v16
	ds_store_b32 v23, v16 offset:4096
.LBB59_18:                              ;   in Loop: Header=BB59_13 Depth=1
	s_or_b32 exec_lo, exec_lo, s14
	s_and_saveexec_b32 s14, s19
	s_cbranch_execz .LBB59_20
; %bb.19:                               ;   in Loop: Header=BB59_13 Depth=1
	s_mul_u64 s[38:39], s[36:37], s[26:27]
	s_delay_alu instid0(SALU_CYCLE_1)
	v_lshl_add_u64 v[16:17], s[38:39], 1, v[14:15]
	global_load_u16 v16, v[16:17], off
	s_wait_loadcnt 0x0
	v_cvt_f32_f16_e32 v16, v16
	ds_store_b32 v24, v16
.LBB59_20:                              ;   in Loop: Header=BB59_13 Depth=1
	s_or_b32 exec_lo, exec_lo, s14
	s_wait_dscnt 0x0
	s_barrier_signal -1
	s_barrier_wait -1
	s_and_saveexec_b32 s33, s2
	s_cbranch_execz .LBB59_12
; %bb.21:                               ;   in Loop: Header=BB59_13 Depth=1
	s_and_saveexec_b32 s38, s17
	s_cbranch_execz .LBB59_24
; %bb.22:                               ;   in Loop: Header=BB59_13 Depth=1
	v_dual_mov_b32 v16, v21 :: v_dual_mov_b32 v17, v20
	s_mov_b64 s[14:15], s[28:29]
.LBB59_23:                              ;   Parent Loop BB59_13 Depth=1
                                        ; =>  This Inner Loop Header: Depth=2
	ds_load_b32 v18, v16
	ds_load_b32 v19, v17
	v_dual_add_nc_u32 v17, 4, v17 :: v_dual_add_nc_u32 v16, 4, v16
	s_add_nc_u64 s[14:15], s[14:15], -1
	s_delay_alu instid0(SALU_CYCLE_1)
	s_cmp_lg_u64 s[14:15], 0
	s_wait_dscnt 0x0
	v_fma_f32 v4, v18, v19, v4
	s_cbranch_scc1 .LBB59_23
.LBB59_24:                              ;   in Loop: Header=BB59_13 Depth=1
	s_or_b32 exec_lo, exec_lo, s38
	s_and_saveexec_b32 s38, s23
	s_cbranch_execz .LBB59_11
; %bb.25:                               ;   in Loop: Header=BB59_13 Depth=1
	v_dual_mov_b32 v16, v21 :: v_dual_mov_b32 v17, v22
	s_mov_b64 s[14:15], s[28:29]
.LBB59_26:                              ;   Parent Loop BB59_13 Depth=1
                                        ; =>  This Inner Loop Header: Depth=2
	ds_load_b32 v18, v16
	ds_load_b32 v19, v17
	v_dual_add_nc_u32 v17, 4, v17 :: v_dual_add_nc_u32 v16, 4, v16
	s_add_nc_u64 s[14:15], s[14:15], -1
	s_delay_alu instid0(SALU_CYCLE_1)
	s_cmp_lg_u64 s[14:15], 0
	s_wait_dscnt 0x0
	v_fma_f32 v5, v18, v19, v5
	s_cbranch_scc1 .LBB59_26
	s_branch .LBB59_11
.LBB59_27:
	v_mov_b64_e32 v[4:5], 0
.LBB59_28:
	s_and_b32 s2, s21, s2
	s_delay_alu instid0(SALU_CYCLE_1)
	s_and_saveexec_b32 s3, s2
	s_cbranch_execz .LBB59_48
; %bb.29:
	v_mad_nc_u64_u32 v[6:7], s28, s18, v[6:7]
	s_load_b64 s[2:3], s[0:1], 0x78
	s_cmp_neq_f32 s22, 0
	s_wait_xcnt 0x0
	s_mov_b32 s0, exec_lo
	s_cselect_b32 s4, -1, 0
	s_cmp_lg_u32 s16, 1
	s_cselect_b32 s1, -1, 0
	s_delay_alu instid0(VALU_DEP_1) | instskip(SKIP_1) | instid1(VALU_DEP_1)
	v_mad_u32 v7, s29, s18, v7
	s_wait_kmcnt 0x0
	v_mul_u64_e32 v[8:9], s[2:3], v[6:7]
	v_lshl_add_u64 v[6:7], v[6:7], 2, s[30:31]
	s_delay_alu instid0(VALU_DEP_2)
	v_lshl_add_u64 v[8:9], v[8:9], 2, s[30:31]
	v_cmpx_gt_i64_e64 s[6:7], v[2:3]
	s_cbranch_execz .LBB59_41
; %bb.30:
	s_and_b32 vcc_lo, exec_lo, s4
	s_cbranch_vccz .LBB59_36
; %bb.31:
	s_and_b32 vcc_lo, exec_lo, s1
	s_mov_b32 s5, -1
	s_cbranch_vccz .LBB59_33
; %bb.32:
	v_lshl_add_u64 v[10:11], v[2:3], 2, v[8:9]
	v_mul_f32_e32 v13, s20, v4
	s_mov_b32 s5, 0
	global_load_b32 v12, v[10:11], off
	s_wait_loadcnt 0x0
	v_fmac_f32_e32 v13, s22, v12
	global_store_b32 v[10:11], v13, off
.LBB59_33:
	s_and_not1_b32 vcc_lo, exec_lo, s5
	s_cbranch_vccnz .LBB59_35
; %bb.34:
	s_wait_xcnt 0x0
	v_mul_u64_e32 v[10:11], s[2:3], v[2:3]
	v_mul_f32_e32 v13, s20, v4
	s_delay_alu instid0(VALU_DEP_2)
	v_lshl_add_u64 v[10:11], v[10:11], 2, v[6:7]
	global_load_b32 v12, v[10:11], off
	s_wait_loadcnt 0x0
	v_fmac_f32_e32 v13, s22, v12
	global_store_b32 v[10:11], v13, off
.LBB59_35:
	s_cbranch_execz .LBB59_37
	s_branch .LBB59_41
.LBB59_36:
.LBB59_37:
	v_mul_f32_e32 v4, s20, v4
	s_and_b32 vcc_lo, exec_lo, s1
	s_mov_b32 s5, -1
	s_cbranch_vccz .LBB59_39
; %bb.38:
	s_wait_xcnt 0x0
	v_lshl_add_u64 v[10:11], v[2:3], 2, v[8:9]
	s_mov_b32 s5, 0
	global_store_b32 v[10:11], v4, off
.LBB59_39:
	s_and_not1_b32 vcc_lo, exec_lo, s5
	s_cbranch_vccnz .LBB59_41
; %bb.40:
	v_mul_u64_e32 v[2:3], s[2:3], v[2:3]
	s_delay_alu instid0(VALU_DEP_1)
	v_lshl_add_u64 v[2:3], v[2:3], 2, v[6:7]
	global_store_b32 v[2:3], v4, off
.LBB59_41:
	s_wait_xcnt 0x0
	s_or_b32 exec_lo, exec_lo, s0
	v_cmp_gt_i64_e32 vcc_lo, s[6:7], v[0:1]
	s_and_b32 exec_lo, exec_lo, vcc_lo
	s_cbranch_execz .LBB59_48
; %bb.42:
	v_cndmask_b32_e64 v2, 0, 1, s1
	s_and_not1_b32 vcc_lo, exec_lo, s4
	s_delay_alu instid0(VALU_DEP_1)
	v_cmp_ne_u32_e64 s0, 1, v2
	s_cbranch_vccnz .LBB59_49
; %bb.43:
	s_and_b32 vcc_lo, exec_lo, s0
	s_mov_b32 s0, -1
	s_cbranch_vccnz .LBB59_45
; %bb.44:
	v_lshl_add_u64 v[2:3], v[0:1], 2, v[8:9]
	v_mul_f32_e32 v10, s20, v5
	s_mov_b32 s0, 0
	global_load_b32 v4, v[2:3], off
	s_wait_loadcnt 0x0
	v_fmac_f32_e32 v10, s22, v4
	global_store_b32 v[2:3], v10, off
.LBB59_45:
	s_and_not1_b32 vcc_lo, exec_lo, s0
	s_cbranch_vccnz .LBB59_47
; %bb.46:
	s_wait_xcnt 0x0
	v_mul_u64_e32 v[2:3], s[2:3], v[0:1]
	v_mul_f32_e32 v10, s20, v5
	s_delay_alu instid0(VALU_DEP_2)
	v_lshl_add_u64 v[2:3], v[2:3], 2, v[6:7]
	global_load_b32 v4, v[2:3], off
	s_wait_loadcnt 0x0
	v_fmac_f32_e32 v10, s22, v4
	global_store_b32 v[2:3], v10, off
.LBB59_47:
	s_cbranch_execz .LBB59_50
.LBB59_48:
	s_endpgm
.LBB59_49:
.LBB59_50:
	s_wait_xcnt 0x0
	v_mul_f32_e32 v2, s20, v5
	s_and_not1_b32 vcc_lo, exec_lo, s1
	s_mov_b32 s0, -1
	s_cbranch_vccnz .LBB59_52
; %bb.51:
	v_lshl_add_u64 v[4:5], v[0:1], 2, v[8:9]
	s_mov_b32 s0, 0
	global_store_b32 v[4:5], v2, off
.LBB59_52:
	s_and_not1_b32 vcc_lo, exec_lo, s0
	s_cbranch_vccnz .LBB59_48
; %bb.53:
	v_mul_u64_e32 v[0:1], s[2:3], v[0:1]
	s_delay_alu instid0(VALU_DEP_1)
	v_lshl_add_u64 v[0:1], v[0:1], 2, v[6:7]
	global_store_b32 v[0:1], v2, off
	s_endpgm
	.section	.rodata,"a",@progbits
	.p2align	6, 0x0
	.amdhsa_kernel _ZN9rocsparseL31bsrmm_large_blockdim_kernel_extILj32ELj32ELj2EllDF16_DF16_ffEEvb20rocsparse_direction_T3_S2_llNS_24const_host_device_scalarIT7_EEPKT2_PKS2_PKT4_S2_PKT5_llS5_PT6_ll16rocsparse_order_21rocsparse_index_base_b
		.amdhsa_group_segment_fixed_size 12288
		.amdhsa_private_segment_fixed_size 0
		.amdhsa_kernarg_size 148
		.amdhsa_user_sgpr_count 2
		.amdhsa_user_sgpr_dispatch_ptr 0
		.amdhsa_user_sgpr_queue_ptr 0
		.amdhsa_user_sgpr_kernarg_segment_ptr 1
		.amdhsa_user_sgpr_dispatch_id 0
		.amdhsa_user_sgpr_kernarg_preload_length 0
		.amdhsa_user_sgpr_kernarg_preload_offset 0
		.amdhsa_user_sgpr_private_segment_size 0
		.amdhsa_wavefront_size32 1
		.amdhsa_uses_dynamic_stack 0
		.amdhsa_enable_private_segment 0
		.amdhsa_system_sgpr_workgroup_id_x 1
		.amdhsa_system_sgpr_workgroup_id_y 1
		.amdhsa_system_sgpr_workgroup_id_z 0
		.amdhsa_system_sgpr_workgroup_info 0
		.amdhsa_system_vgpr_workitem_id 1
		.amdhsa_next_free_vgpr 30
		.amdhsa_next_free_sgpr 40
		.amdhsa_named_barrier_count 0
		.amdhsa_reserve_vcc 1
		.amdhsa_float_round_mode_32 0
		.amdhsa_float_round_mode_16_64 0
		.amdhsa_float_denorm_mode_32 3
		.amdhsa_float_denorm_mode_16_64 3
		.amdhsa_fp16_overflow 0
		.amdhsa_memory_ordered 1
		.amdhsa_forward_progress 1
		.amdhsa_inst_pref_size 14
		.amdhsa_round_robin_scheduling 0
		.amdhsa_exception_fp_ieee_invalid_op 0
		.amdhsa_exception_fp_denorm_src 0
		.amdhsa_exception_fp_ieee_div_zero 0
		.amdhsa_exception_fp_ieee_overflow 0
		.amdhsa_exception_fp_ieee_underflow 0
		.amdhsa_exception_fp_ieee_inexact 0
		.amdhsa_exception_int_div_zero 0
	.end_amdhsa_kernel
	.section	.text._ZN9rocsparseL31bsrmm_large_blockdim_kernel_extILj32ELj32ELj2EllDF16_DF16_ffEEvb20rocsparse_direction_T3_S2_llNS_24const_host_device_scalarIT7_EEPKT2_PKS2_PKT4_S2_PKT5_llS5_PT6_ll16rocsparse_order_21rocsparse_index_base_b,"axG",@progbits,_ZN9rocsparseL31bsrmm_large_blockdim_kernel_extILj32ELj32ELj2EllDF16_DF16_ffEEvb20rocsparse_direction_T3_S2_llNS_24const_host_device_scalarIT7_EEPKT2_PKS2_PKT4_S2_PKT5_llS5_PT6_ll16rocsparse_order_21rocsparse_index_base_b,comdat
.Lfunc_end59:
	.size	_ZN9rocsparseL31bsrmm_large_blockdim_kernel_extILj32ELj32ELj2EllDF16_DF16_ffEEvb20rocsparse_direction_T3_S2_llNS_24const_host_device_scalarIT7_EEPKT2_PKS2_PKT4_S2_PKT5_llS5_PT6_ll16rocsparse_order_21rocsparse_index_base_b, .Lfunc_end59-_ZN9rocsparseL31bsrmm_large_blockdim_kernel_extILj32ELj32ELj2EllDF16_DF16_ffEEvb20rocsparse_direction_T3_S2_llNS_24const_host_device_scalarIT7_EEPKT2_PKS2_PKT4_S2_PKT5_llS5_PT6_ll16rocsparse_order_21rocsparse_index_base_b
                                        ; -- End function
	.set _ZN9rocsparseL31bsrmm_large_blockdim_kernel_extILj32ELj32ELj2EllDF16_DF16_ffEEvb20rocsparse_direction_T3_S2_llNS_24const_host_device_scalarIT7_EEPKT2_PKS2_PKT4_S2_PKT5_llS5_PT6_ll16rocsparse_order_21rocsparse_index_base_b.num_vgpr, 30
	.set _ZN9rocsparseL31bsrmm_large_blockdim_kernel_extILj32ELj32ELj2EllDF16_DF16_ffEEvb20rocsparse_direction_T3_S2_llNS_24const_host_device_scalarIT7_EEPKT2_PKS2_PKT4_S2_PKT5_llS5_PT6_ll16rocsparse_order_21rocsparse_index_base_b.num_agpr, 0
	.set _ZN9rocsparseL31bsrmm_large_blockdim_kernel_extILj32ELj32ELj2EllDF16_DF16_ffEEvb20rocsparse_direction_T3_S2_llNS_24const_host_device_scalarIT7_EEPKT2_PKS2_PKT4_S2_PKT5_llS5_PT6_ll16rocsparse_order_21rocsparse_index_base_b.numbered_sgpr, 40
	.set _ZN9rocsparseL31bsrmm_large_blockdim_kernel_extILj32ELj32ELj2EllDF16_DF16_ffEEvb20rocsparse_direction_T3_S2_llNS_24const_host_device_scalarIT7_EEPKT2_PKS2_PKT4_S2_PKT5_llS5_PT6_ll16rocsparse_order_21rocsparse_index_base_b.num_named_barrier, 0
	.set _ZN9rocsparseL31bsrmm_large_blockdim_kernel_extILj32ELj32ELj2EllDF16_DF16_ffEEvb20rocsparse_direction_T3_S2_llNS_24const_host_device_scalarIT7_EEPKT2_PKS2_PKT4_S2_PKT5_llS5_PT6_ll16rocsparse_order_21rocsparse_index_base_b.private_seg_size, 0
	.set _ZN9rocsparseL31bsrmm_large_blockdim_kernel_extILj32ELj32ELj2EllDF16_DF16_ffEEvb20rocsparse_direction_T3_S2_llNS_24const_host_device_scalarIT7_EEPKT2_PKS2_PKT4_S2_PKT5_llS5_PT6_ll16rocsparse_order_21rocsparse_index_base_b.uses_vcc, 1
	.set _ZN9rocsparseL31bsrmm_large_blockdim_kernel_extILj32ELj32ELj2EllDF16_DF16_ffEEvb20rocsparse_direction_T3_S2_llNS_24const_host_device_scalarIT7_EEPKT2_PKS2_PKT4_S2_PKT5_llS5_PT6_ll16rocsparse_order_21rocsparse_index_base_b.uses_flat_scratch, 0
	.set _ZN9rocsparseL31bsrmm_large_blockdim_kernel_extILj32ELj32ELj2EllDF16_DF16_ffEEvb20rocsparse_direction_T3_S2_llNS_24const_host_device_scalarIT7_EEPKT2_PKS2_PKT4_S2_PKT5_llS5_PT6_ll16rocsparse_order_21rocsparse_index_base_b.has_dyn_sized_stack, 0
	.set _ZN9rocsparseL31bsrmm_large_blockdim_kernel_extILj32ELj32ELj2EllDF16_DF16_ffEEvb20rocsparse_direction_T3_S2_llNS_24const_host_device_scalarIT7_EEPKT2_PKS2_PKT4_S2_PKT5_llS5_PT6_ll16rocsparse_order_21rocsparse_index_base_b.has_recursion, 0
	.set _ZN9rocsparseL31bsrmm_large_blockdim_kernel_extILj32ELj32ELj2EllDF16_DF16_ffEEvb20rocsparse_direction_T3_S2_llNS_24const_host_device_scalarIT7_EEPKT2_PKS2_PKT4_S2_PKT5_llS5_PT6_ll16rocsparse_order_21rocsparse_index_base_b.has_indirect_call, 0
	.section	.AMDGPU.csdata,"",@progbits
; Kernel info:
; codeLenInByte = 1764
; TotalNumSgprs: 42
; NumVgprs: 30
; ScratchSize: 0
; MemoryBound: 0
; FloatMode: 240
; IeeeMode: 1
; LDSByteSize: 12288 bytes/workgroup (compile time only)
; SGPRBlocks: 0
; VGPRBlocks: 1
; NumSGPRsForWavesPerEU: 42
; NumVGPRsForWavesPerEU: 30
; NamedBarCnt: 0
; Occupancy: 16
; WaveLimiterHint : 1
; COMPUTE_PGM_RSRC2:SCRATCH_EN: 0
; COMPUTE_PGM_RSRC2:USER_SGPR: 2
; COMPUTE_PGM_RSRC2:TRAP_HANDLER: 0
; COMPUTE_PGM_RSRC2:TGID_X_EN: 1
; COMPUTE_PGM_RSRC2:TGID_Y_EN: 1
; COMPUTE_PGM_RSRC2:TGID_Z_EN: 0
; COMPUTE_PGM_RSRC2:TIDIG_COMP_CNT: 1
	.section	.text._ZN9rocsparseL31bsrmm_large_blockdim_kernel_extILj8ELj8ELj2EiiaaiiEEvb20rocsparse_direction_T3_S2_llNS_24const_host_device_scalarIT7_EEPKT2_PKS2_PKT4_S2_PKT5_llS5_PT6_ll16rocsparse_order_21rocsparse_index_base_b,"axG",@progbits,_ZN9rocsparseL31bsrmm_large_blockdim_kernel_extILj8ELj8ELj2EiiaaiiEEvb20rocsparse_direction_T3_S2_llNS_24const_host_device_scalarIT7_EEPKT2_PKS2_PKT4_S2_PKT5_llS5_PT6_ll16rocsparse_order_21rocsparse_index_base_b,comdat
	.globl	_ZN9rocsparseL31bsrmm_large_blockdim_kernel_extILj8ELj8ELj2EiiaaiiEEvb20rocsparse_direction_T3_S2_llNS_24const_host_device_scalarIT7_EEPKT2_PKS2_PKT4_S2_PKT5_llS5_PT6_ll16rocsparse_order_21rocsparse_index_base_b ; -- Begin function _ZN9rocsparseL31bsrmm_large_blockdim_kernel_extILj8ELj8ELj2EiiaaiiEEvb20rocsparse_direction_T3_S2_llNS_24const_host_device_scalarIT7_EEPKT2_PKS2_PKT4_S2_PKT5_llS5_PT6_ll16rocsparse_order_21rocsparse_index_base_b
	.p2align	8
	.type	_ZN9rocsparseL31bsrmm_large_blockdim_kernel_extILj8ELj8ELj2EiiaaiiEEvb20rocsparse_direction_T3_S2_llNS_24const_host_device_scalarIT7_EEPKT2_PKS2_PKT4_S2_PKT5_llS5_PT6_ll16rocsparse_order_21rocsparse_index_base_b,@function
_ZN9rocsparseL31bsrmm_large_blockdim_kernel_extILj8ELj8ELj2EiiaaiiEEvb20rocsparse_direction_T3_S2_llNS_24const_host_device_scalarIT7_EEPKT2_PKS2_PKT4_S2_PKT5_llS5_PT6_ll16rocsparse_order_21rocsparse_index_base_b: ; @_ZN9rocsparseL31bsrmm_large_blockdim_kernel_extILj8ELj8ELj2EiiaaiiEEvb20rocsparse_direction_T3_S2_llNS_24const_host_device_scalarIT7_EEPKT2_PKS2_PKT4_S2_PKT5_llS5_PT6_ll16rocsparse_order_21rocsparse_index_base_b
; %bb.0:
	s_clause 0x1
	s_load_b96 s[20:22], s[0:1], 0x80
	s_load_b64 s[4:5], s[0:1], 0x20
	s_mov_b32 s7, -1
                                        ; implicit-def: $sgpr24
	s_wait_kmcnt 0x0
	s_bitcmp1_b32 s22, 0
	s_cselect_b32 s2, -1, 0
	s_delay_alu instid0(SALU_CYCLE_1) | instskip(NEXT) | instid1(SALU_CYCLE_1)
	s_xor_b32 s6, s2, -1
	s_and_b32 vcc_lo, exec_lo, s6
	s_cbranch_vccnz .LBB60_4
; %bb.1:
	s_load_b64 s[2:3], s[0:1], 0x60
	s_and_not1_b32 vcc_lo, exec_lo, s7
	s_cbranch_vccz .LBB60_5
.LBB60_2:
	s_and_b32 vcc_lo, exec_lo, s6
	s_cbranch_vccz .LBB60_6
.LBB60_3:
	s_wait_kmcnt 0x0
	s_load_b32 s25, s[2:3], 0x0
	s_wait_xcnt 0x0
	s_cbranch_execz .LBB60_7
	s_branch .LBB60_8
.LBB60_4:
	s_load_b32 s24, s[4:5], 0x0
	s_load_b64 s[2:3], s[0:1], 0x60
	s_cbranch_execnz .LBB60_2
.LBB60_5:
	s_wait_kmcnt 0x0
	s_mov_b32 s24, s4
	s_and_b32 vcc_lo, exec_lo, s6
	s_cbranch_vccnz .LBB60_3
.LBB60_6:
	s_wait_kmcnt 0x0
                                        ; implicit-def: $sgpr25
.LBB60_7:
	s_wait_kmcnt 0x0
	s_mov_b32 s25, s2
.LBB60_8:
	s_cmp_eq_u32 s24, 0
	s_mov_b32 s22, 0
	s_cselect_b32 s2, -1, 0
	s_wait_kmcnt 0x0
	s_cmp_eq_u32 s25, 1
	s_cselect_b32 s3, -1, 0
	s_delay_alu instid0(SALU_CYCLE_1) | instskip(NEXT) | instid1(SALU_CYCLE_1)
	s_and_b32 s2, s2, s3
	s_and_b32 vcc_lo, exec_lo, s2
	s_cbranch_vccnz .LBB60_52
; %bb.9:
	s_clause 0x1
	s_load_b128 s[8:11], s[0:1], 0x0
	s_load_b64 s[2:3], s[0:1], 0x28
	s_bfe_u32 s4, ttmp6, 0x4000c
	s_and_b32 s5, ttmp6, 15
	s_add_co_i32 s4, s4, 1
	s_delay_alu instid0(SALU_CYCLE_1)
	s_mul_i32 s6, ttmp9, s4
	s_getreg_b32 s4, hwreg(HW_REG_IB_STS2, 6, 4)
	s_add_co_i32 s5, s5, s6
	s_cmp_eq_u32 s4, 0
	s_cselect_b32 s6, ttmp9, s5
	s_wait_kmcnt 0x0
	s_cmp_lt_i32 s6, s10
	s_cselect_b32 s26, -1, 0
	s_cmp_ge_i32 s6, s10
	s_cbranch_scc1 .LBB60_11
; %bb.10:
	s_ashr_i32 s7, s6, 31
	s_delay_alu instid0(SALU_CYCLE_1) | instskip(NEXT) | instid1(SALU_CYCLE_1)
	s_lshl_b64 s[12:13], s[6:7], 2
	s_add_nc_u64 s[12:13], s[2:3], s[12:13]
	s_load_b32 s5, s[12:13], 0x0
	s_wait_kmcnt 0x0
	s_sub_co_i32 s22, s5, s21
.LBB60_11:
	s_and_not1_b32 vcc_lo, exec_lo, s26
	s_mov_b32 s10, 0
	s_cbranch_vccnz .LBB60_13
; %bb.12:
	s_ashr_i32 s7, s6, 31
	s_delay_alu instid0(SALU_CYCLE_1) | instskip(NEXT) | instid1(SALU_CYCLE_1)
	s_lshl_b64 s[12:13], s[6:7], 2
	s_add_nc_u64 s[2:3], s[2:3], s[12:13]
	s_load_b32 s2, s[2:3], 0x4
	s_wait_kmcnt 0x0
	s_sub_co_i32 s10, s2, s21
.LBB60_13:
	s_bfe_u32 s2, ttmp6, 0x40010
	s_bfe_u32 s3, ttmp6, 0x40004
	s_add_co_i32 s2, s2, 1
	s_load_b32 s7, s[0:1], 0x40
	s_mul_i32 s2, ttmp7, s2
	v_bfe_u32 v2, v0, 10, 10
	s_add_co_i32 s3, s3, s2
	s_cmp_eq_u32 s4, 0
	v_and_b32_e32 v14, 0x3ff, v0
	s_cselect_b32 s2, ttmp7, s3
	s_cmp_ge_i32 s22, s10
	v_lshl_add_u32 v4, s2, 4, v2
	s_delay_alu instid0(VALU_DEP_1) | instskip(SKIP_1) | instid1(VALU_DEP_2)
	v_add_nc_u32_e32 v0, 8, v4
	v_cmp_gt_i32_e64 s2, s11, v4
	v_cmp_gt_i32_e64 s3, s11, v0
	s_wait_kmcnt 0x0
	v_cmp_gt_i32_e32 vcc_lo, s7, v14
	s_cbranch_scc1 .LBB60_31
; %bb.14:
	s_clause 0x1
	s_load_b128 s[12:15], s[0:1], 0x48
	s_load_b128 s[16:19], s[0:1], 0x30
	v_dual_ashrrev_i32 v5, 31, v4 :: v_dual_lshlrev_b32 v15, 5, v2
	v_dual_ashrrev_i32 v1, 31, v0 :: v_dual_lshlrev_b32 v12, 5, v14
	v_cmp_gt_i32_e64 s4, s7, v2
	v_mad_u32 v3, s7, v2, v14
	v_mad_u32 v10, s7, v14, v2
	v_lshl_add_u32 v11, v2, 2, 0x200
	v_lshlrev_b32_e32 v13, 2, v14
	s_and_b32 s27, vcc_lo, s4
	s_bitcmp1_b32 s8, 0
	v_add_nc_u32_e32 v17, 0x200, v12
	s_cselect_b32 s4, -1, 0
	s_cmp_eq_u32 s9, 0
	v_add_nc_u32_e32 v20, v11, v12
	s_cselect_b32 s5, -1, 0
	v_add_nc_u32_e32 v18, 0x100, v15
	v_dual_cndmask_b32 v16, v3, v10, s5 :: v_dual_add_nc_u32 v19, v13, v15
	s_wait_kmcnt 0x0
	v_mul_u64_e32 v[6:7], s[14:15], v[4:5]
	v_mul_u64_e32 v[8:9], s[14:15], v[0:1]
	v_mov_b64_e32 v[2:3], 0
	s_mul_i32 s5, s7, s7
	s_branch .LBB60_17
.LBB60_15:                              ;   in Loop: Header=BB60_17 Depth=1
	s_or_b32 exec_lo, exec_lo, s9
.LBB60_16:                              ;   in Loop: Header=BB60_17 Depth=1
	s_delay_alu instid0(SALU_CYCLE_1) | instskip(SKIP_1) | instid1(SALU_CYCLE_1)
	s_or_b32 exec_lo, exec_lo, s8
	s_add_co_i32 s22, s22, 1
	s_cmp_ge_i32 s22, s10
	s_barrier_signal -1
	s_barrier_wait -1
	s_cbranch_scc1 .LBB60_32
.LBB60_17:                              ; =>This Loop Header: Depth=1
                                        ;     Child Loop BB60_27 Depth 2
                                        ;     Child Loop BB60_30 Depth 2
	s_and_saveexec_b32 s8, vcc_lo
	s_cbranch_execz .LBB60_22
; %bb.18:                               ;   in Loop: Header=BB60_17 Depth=1
	s_ashr_i32 s23, s22, 31
	s_delay_alu instid0(SALU_CYCLE_1) | instskip(NEXT) | instid1(SALU_CYCLE_1)
	s_lshl_b64 s[28:29], s[22:23], 2
	s_add_nc_u64 s[28:29], s[16:17], s[28:29]
	s_load_b32 s9, s[28:29], 0x0
	s_wait_kmcnt 0x0
	s_sub_co_i32 s9, s9, s21
	s_delay_alu instid0(SALU_CYCLE_1) | instskip(NEXT) | instid1(VALU_DEP_1)
	v_mad_u32 v12, s9, s7, v14
	v_mad_nc_u64_u32 v[10:11], s14, v12, s[12:13]
	v_ashrrev_i32_e32 v13, 31, v12
	s_delay_alu instid0(VALU_DEP_2) | instskip(NEXT) | instid1(VALU_DEP_1)
	v_mad_u32 v11, s15, v12, v11
	v_mad_u32 v11, s14, v13, v11
	v_add_nc_u64_e32 v[12:13], s[12:13], v[12:13]
	s_and_saveexec_b32 s9, s2
	s_cbranch_execz .LBB60_20
; %bb.19:                               ;   in Loop: Header=BB60_17 Depth=1
	s_delay_alu instid0(VALU_DEP_2) | instskip(NEXT) | instid1(VALU_DEP_2)
	v_add_nc_u64_e32 v[22:23], v[10:11], v[4:5]
	v_add_nc_u64_e32 v[24:25], v[12:13], v[6:7]
	s_delay_alu instid0(VALU_DEP_1)
	v_dual_cndmask_b32 v23, v23, v25, s4 :: v_dual_cndmask_b32 v22, v22, v24, s4
	global_load_i8 v21, v[22:23], off
	s_wait_loadcnt 0x0
	ds_store_b32 v19, v21
.LBB60_20:                              ;   in Loop: Header=BB60_17 Depth=1
	s_or_b32 exec_lo, exec_lo, s9
	s_delay_alu instid0(SALU_CYCLE_1)
	s_and_b32 exec_lo, exec_lo, s3
	s_cbranch_execz .LBB60_22
; %bb.21:                               ;   in Loop: Header=BB60_17 Depth=1
	s_delay_alu instid0(VALU_DEP_1) | instskip(NEXT) | instid1(VALU_DEP_3)
	v_add_nc_u64_e32 v[12:13], v[12:13], v[8:9]
	v_add_nc_u64_e32 v[10:11], v[10:11], v[0:1]
	s_delay_alu instid0(VALU_DEP_1)
	v_dual_cndmask_b32 v11, v11, v13, s4 :: v_dual_cndmask_b32 v10, v10, v12, s4
	global_load_i8 v10, v[10:11], off
	s_wait_loadcnt 0x0
	ds_store_b32 v19, v10 offset:256
.LBB60_22:                              ;   in Loop: Header=BB60_17 Depth=1
	s_or_b32 exec_lo, exec_lo, s8
	s_and_saveexec_b32 s8, s27
	s_cbranch_execz .LBB60_24
; %bb.23:                               ;   in Loop: Header=BB60_17 Depth=1
	v_mad_u32 v10, s5, s22, v16
	global_load_i8 v10, v10, s[18:19]
	s_wait_loadcnt 0x0
	ds_store_b32 v20, v10
.LBB60_24:                              ;   in Loop: Header=BB60_17 Depth=1
	s_or_b32 exec_lo, exec_lo, s8
	s_wait_dscnt 0x0
	s_barrier_signal -1
	s_barrier_wait -1
	s_and_saveexec_b32 s8, vcc_lo
	s_cbranch_execz .LBB60_16
; %bb.25:                               ;   in Loop: Header=BB60_17 Depth=1
	s_and_saveexec_b32 s9, s2
	s_cbranch_execz .LBB60_28
; %bb.26:                               ;   in Loop: Header=BB60_17 Depth=1
	v_dual_mov_b32 v10, v17 :: v_dual_mov_b32 v11, v15
	s_mov_b32 s23, s7
.LBB60_27:                              ;   Parent Loop BB60_17 Depth=1
                                        ; =>  This Inner Loop Header: Depth=2
	ds_load_b32 v12, v10
	ds_load_b32 v13, v11
	v_dual_add_nc_u32 v11, 4, v11 :: v_dual_add_nc_u32 v10, 4, v10
	s_add_co_i32 s23, s23, -1
	s_delay_alu instid0(SALU_CYCLE_1)
	s_cmp_lg_u32 s23, 0
	s_wait_dscnt 0x0
	v_mad_u32 v2, v13, v12, v2
	s_cbranch_scc1 .LBB60_27
.LBB60_28:                              ;   in Loop: Header=BB60_17 Depth=1
	s_or_b32 exec_lo, exec_lo, s9
	s_and_saveexec_b32 s9, s3
	s_cbranch_execz .LBB60_15
; %bb.29:                               ;   in Loop: Header=BB60_17 Depth=1
	v_dual_mov_b32 v10, v17 :: v_dual_mov_b32 v11, v18
	s_mov_b32 s23, s7
.LBB60_30:                              ;   Parent Loop BB60_17 Depth=1
                                        ; =>  This Inner Loop Header: Depth=2
	ds_load_b32 v12, v10
	ds_load_b32 v13, v11
	v_dual_add_nc_u32 v11, 4, v11 :: v_dual_add_nc_u32 v10, 4, v10
	s_add_co_i32 s23, s23, -1
	s_delay_alu instid0(SALU_CYCLE_1)
	s_cmp_lg_u32 s23, 0
	s_wait_dscnt 0x0
	v_mad_u32 v3, v13, v12, v3
	s_cbranch_scc1 .LBB60_30
	s_branch .LBB60_15
.LBB60_31:
	v_mov_b64_e32 v[2:3], 0
.LBB60_32:
	s_load_b64 s[4:5], s[0:1], 0x68
	s_and_b32 s2, s26, vcc_lo
	s_delay_alu instid0(SALU_CYCLE_1)
	s_and_saveexec_b32 s3, s2
	s_cbranch_execz .LBB60_52
; %bb.33:
	s_load_b64 s[2:3], s[0:1], 0x70
	v_mad_u32 v6, s7, s6, v14
	s_cmp_lg_u32 s25, 0
	s_wait_xcnt 0x0
	s_mov_b32 s0, exec_lo
	s_cselect_b32 s6, -1, 0
	s_cmp_lg_u32 s20, 1
	s_cselect_b32 s1, -1, 0
	s_delay_alu instid0(VALU_DEP_1) | instskip(SKIP_1) | instid1(VALU_DEP_1)
	v_ashrrev_i32_e32 v7, 31, v6
	s_wait_kmcnt 0x0
	v_mul_u64_e32 v[8:9], s[2:3], v[6:7]
	v_lshl_add_u64 v[6:7], v[6:7], 2, s[4:5]
	s_delay_alu instid0(VALU_DEP_2)
	v_lshl_add_u64 v[8:9], v[8:9], 2, s[4:5]
	v_cmpx_gt_i32_e64 s11, v4
	s_cbranch_execz .LBB60_45
; %bb.34:
	v_ashrrev_i32_e32 v5, 31, v4
	s_and_b32 vcc_lo, exec_lo, s6
	s_cbranch_vccz .LBB60_40
; %bb.35:
	s_and_b32 vcc_lo, exec_lo, s1
	s_mov_b32 s4, -1
	s_cbranch_vccz .LBB60_37
; %bb.36:
	v_lshl_add_u64 v[10:11], v[4:5], 2, v[8:9]
	v_mul_lo_u32 v12, v2, s24
	s_mov_b32 s4, 0
	global_load_b32 v1, v[10:11], off
	s_wait_loadcnt 0x0
	v_mad_u32 v1, v1, s25, v12
	global_store_b32 v[10:11], v1, off
.LBB60_37:
	s_and_not1_b32 vcc_lo, exec_lo, s4
	s_cbranch_vccnz .LBB60_39
; %bb.38:
	s_wait_xcnt 0x0
	v_mul_u64_e32 v[10:11], s[2:3], v[4:5]
	v_mul_lo_u32 v12, v2, s24
	s_delay_alu instid0(VALU_DEP_2)
	v_lshl_add_u64 v[10:11], v[10:11], 2, v[6:7]
	global_load_b32 v1, v[10:11], off
	s_wait_loadcnt 0x0
	v_mad_u32 v1, v1, s25, v12
	global_store_b32 v[10:11], v1, off
.LBB60_39:
	s_cbranch_execz .LBB60_41
	s_branch .LBB60_45
.LBB60_40:
.LBB60_41:
	s_wait_xcnt 0x0
	v_mul_lo_u32 v1, v2, s24
	s_and_b32 vcc_lo, exec_lo, s1
	s_mov_b32 s4, -1
	s_cbranch_vccz .LBB60_43
; %bb.42:
	v_lshl_add_u64 v[10:11], v[4:5], 2, v[8:9]
	s_mov_b32 s4, 0
	global_store_b32 v[10:11], v1, off
.LBB60_43:
	s_and_not1_b32 vcc_lo, exec_lo, s4
	s_cbranch_vccnz .LBB60_45
; %bb.44:
	v_mul_u64_e32 v[4:5], s[2:3], v[4:5]
	s_delay_alu instid0(VALU_DEP_1)
	v_lshl_add_u64 v[4:5], v[4:5], 2, v[6:7]
	global_store_b32 v[4:5], v1, off
.LBB60_45:
	s_wait_xcnt 0x0
	s_or_b32 exec_lo, exec_lo, s0
	v_cmp_gt_i32_e32 vcc_lo, s11, v0
	s_and_b32 exec_lo, exec_lo, vcc_lo
	s_cbranch_execz .LBB60_52
; %bb.46:
	v_cndmask_b32_e64 v2, 0, 1, s1
	v_ashrrev_i32_e32 v1, 31, v0
	s_and_not1_b32 vcc_lo, exec_lo, s6
	s_delay_alu instid0(VALU_DEP_2)
	v_cmp_ne_u32_e64 s0, 1, v2
	s_cbranch_vccnz .LBB60_53
; %bb.47:
	s_and_b32 vcc_lo, exec_lo, s0
	s_mov_b32 s0, -1
	s_cbranch_vccnz .LBB60_49
; %bb.48:
	v_lshl_add_u64 v[4:5], v[0:1], 2, v[8:9]
	v_mul_lo_u32 v10, v3, s24
	s_mov_b32 s0, 0
	global_load_b32 v2, v[4:5], off
	s_wait_loadcnt 0x0
	v_mad_u32 v2, v2, s25, v10
	global_store_b32 v[4:5], v2, off
.LBB60_49:
	s_and_not1_b32 vcc_lo, exec_lo, s0
	s_cbranch_vccnz .LBB60_51
; %bb.50:
	s_wait_xcnt 0x0
	v_mul_u64_e32 v[4:5], s[2:3], v[0:1]
	v_mul_lo_u32 v10, v3, s24
	s_delay_alu instid0(VALU_DEP_2)
	v_lshl_add_u64 v[4:5], v[4:5], 2, v[6:7]
	global_load_b32 v2, v[4:5], off
	s_wait_loadcnt 0x0
	v_mad_u32 v2, v2, s25, v10
	global_store_b32 v[4:5], v2, off
.LBB60_51:
	s_cbranch_execz .LBB60_54
.LBB60_52:
	s_endpgm
.LBB60_53:
.LBB60_54:
	s_wait_xcnt 0x0
	v_mul_lo_u32 v2, v3, s24
	s_and_not1_b32 vcc_lo, exec_lo, s1
	s_mov_b32 s0, -1
	s_cbranch_vccnz .LBB60_56
; %bb.55:
	v_lshl_add_u64 v[4:5], v[0:1], 2, v[8:9]
	s_mov_b32 s0, 0
	global_store_b32 v[4:5], v2, off
.LBB60_56:
	s_and_not1_b32 vcc_lo, exec_lo, s0
	s_cbranch_vccnz .LBB60_52
; %bb.57:
	v_mul_u64_e32 v[0:1], s[2:3], v[0:1]
	s_delay_alu instid0(VALU_DEP_1)
	v_lshl_add_u64 v[0:1], v[0:1], 2, v[6:7]
	global_store_b32 v[0:1], v2, off
	s_endpgm
	.section	.rodata,"a",@progbits
	.p2align	6, 0x0
	.amdhsa_kernel _ZN9rocsparseL31bsrmm_large_blockdim_kernel_extILj8ELj8ELj2EiiaaiiEEvb20rocsparse_direction_T3_S2_llNS_24const_host_device_scalarIT7_EEPKT2_PKS2_PKT4_S2_PKT5_llS5_PT6_ll16rocsparse_order_21rocsparse_index_base_b
		.amdhsa_group_segment_fixed_size 768
		.amdhsa_private_segment_fixed_size 0
		.amdhsa_kernarg_size 140
		.amdhsa_user_sgpr_count 2
		.amdhsa_user_sgpr_dispatch_ptr 0
		.amdhsa_user_sgpr_queue_ptr 0
		.amdhsa_user_sgpr_kernarg_segment_ptr 1
		.amdhsa_user_sgpr_dispatch_id 0
		.amdhsa_user_sgpr_kernarg_preload_length 0
		.amdhsa_user_sgpr_kernarg_preload_offset 0
		.amdhsa_user_sgpr_private_segment_size 0
		.amdhsa_wavefront_size32 1
		.amdhsa_uses_dynamic_stack 0
		.amdhsa_enable_private_segment 0
		.amdhsa_system_sgpr_workgroup_id_x 1
		.amdhsa_system_sgpr_workgroup_id_y 1
		.amdhsa_system_sgpr_workgroup_id_z 0
		.amdhsa_system_sgpr_workgroup_info 0
		.amdhsa_system_vgpr_workitem_id 1
		.amdhsa_next_free_vgpr 26
		.amdhsa_next_free_sgpr 30
		.amdhsa_named_barrier_count 0
		.amdhsa_reserve_vcc 1
		.amdhsa_float_round_mode_32 0
		.amdhsa_float_round_mode_16_64 0
		.amdhsa_float_denorm_mode_32 3
		.amdhsa_float_denorm_mode_16_64 3
		.amdhsa_fp16_overflow 0
		.amdhsa_memory_ordered 1
		.amdhsa_forward_progress 1
		.amdhsa_inst_pref_size 14
		.amdhsa_round_robin_scheduling 0
		.amdhsa_exception_fp_ieee_invalid_op 0
		.amdhsa_exception_fp_denorm_src 0
		.amdhsa_exception_fp_ieee_div_zero 0
		.amdhsa_exception_fp_ieee_overflow 0
		.amdhsa_exception_fp_ieee_underflow 0
		.amdhsa_exception_fp_ieee_inexact 0
		.amdhsa_exception_int_div_zero 0
	.end_amdhsa_kernel
	.section	.text._ZN9rocsparseL31bsrmm_large_blockdim_kernel_extILj8ELj8ELj2EiiaaiiEEvb20rocsparse_direction_T3_S2_llNS_24const_host_device_scalarIT7_EEPKT2_PKS2_PKT4_S2_PKT5_llS5_PT6_ll16rocsparse_order_21rocsparse_index_base_b,"axG",@progbits,_ZN9rocsparseL31bsrmm_large_blockdim_kernel_extILj8ELj8ELj2EiiaaiiEEvb20rocsparse_direction_T3_S2_llNS_24const_host_device_scalarIT7_EEPKT2_PKS2_PKT4_S2_PKT5_llS5_PT6_ll16rocsparse_order_21rocsparse_index_base_b,comdat
.Lfunc_end60:
	.size	_ZN9rocsparseL31bsrmm_large_blockdim_kernel_extILj8ELj8ELj2EiiaaiiEEvb20rocsparse_direction_T3_S2_llNS_24const_host_device_scalarIT7_EEPKT2_PKS2_PKT4_S2_PKT5_llS5_PT6_ll16rocsparse_order_21rocsparse_index_base_b, .Lfunc_end60-_ZN9rocsparseL31bsrmm_large_blockdim_kernel_extILj8ELj8ELj2EiiaaiiEEvb20rocsparse_direction_T3_S2_llNS_24const_host_device_scalarIT7_EEPKT2_PKS2_PKT4_S2_PKT5_llS5_PT6_ll16rocsparse_order_21rocsparse_index_base_b
                                        ; -- End function
	.set _ZN9rocsparseL31bsrmm_large_blockdim_kernel_extILj8ELj8ELj2EiiaaiiEEvb20rocsparse_direction_T3_S2_llNS_24const_host_device_scalarIT7_EEPKT2_PKS2_PKT4_S2_PKT5_llS5_PT6_ll16rocsparse_order_21rocsparse_index_base_b.num_vgpr, 26
	.set _ZN9rocsparseL31bsrmm_large_blockdim_kernel_extILj8ELj8ELj2EiiaaiiEEvb20rocsparse_direction_T3_S2_llNS_24const_host_device_scalarIT7_EEPKT2_PKS2_PKT4_S2_PKT5_llS5_PT6_ll16rocsparse_order_21rocsparse_index_base_b.num_agpr, 0
	.set _ZN9rocsparseL31bsrmm_large_blockdim_kernel_extILj8ELj8ELj2EiiaaiiEEvb20rocsparse_direction_T3_S2_llNS_24const_host_device_scalarIT7_EEPKT2_PKS2_PKT4_S2_PKT5_llS5_PT6_ll16rocsparse_order_21rocsparse_index_base_b.numbered_sgpr, 30
	.set _ZN9rocsparseL31bsrmm_large_blockdim_kernel_extILj8ELj8ELj2EiiaaiiEEvb20rocsparse_direction_T3_S2_llNS_24const_host_device_scalarIT7_EEPKT2_PKS2_PKT4_S2_PKT5_llS5_PT6_ll16rocsparse_order_21rocsparse_index_base_b.num_named_barrier, 0
	.set _ZN9rocsparseL31bsrmm_large_blockdim_kernel_extILj8ELj8ELj2EiiaaiiEEvb20rocsparse_direction_T3_S2_llNS_24const_host_device_scalarIT7_EEPKT2_PKS2_PKT4_S2_PKT5_llS5_PT6_ll16rocsparse_order_21rocsparse_index_base_b.private_seg_size, 0
	.set _ZN9rocsparseL31bsrmm_large_blockdim_kernel_extILj8ELj8ELj2EiiaaiiEEvb20rocsparse_direction_T3_S2_llNS_24const_host_device_scalarIT7_EEPKT2_PKS2_PKT4_S2_PKT5_llS5_PT6_ll16rocsparse_order_21rocsparse_index_base_b.uses_vcc, 1
	.set _ZN9rocsparseL31bsrmm_large_blockdim_kernel_extILj8ELj8ELj2EiiaaiiEEvb20rocsparse_direction_T3_S2_llNS_24const_host_device_scalarIT7_EEPKT2_PKS2_PKT4_S2_PKT5_llS5_PT6_ll16rocsparse_order_21rocsparse_index_base_b.uses_flat_scratch, 0
	.set _ZN9rocsparseL31bsrmm_large_blockdim_kernel_extILj8ELj8ELj2EiiaaiiEEvb20rocsparse_direction_T3_S2_llNS_24const_host_device_scalarIT7_EEPKT2_PKS2_PKT4_S2_PKT5_llS5_PT6_ll16rocsparse_order_21rocsparse_index_base_b.has_dyn_sized_stack, 0
	.set _ZN9rocsparseL31bsrmm_large_blockdim_kernel_extILj8ELj8ELj2EiiaaiiEEvb20rocsparse_direction_T3_S2_llNS_24const_host_device_scalarIT7_EEPKT2_PKS2_PKT4_S2_PKT5_llS5_PT6_ll16rocsparse_order_21rocsparse_index_base_b.has_recursion, 0
	.set _ZN9rocsparseL31bsrmm_large_blockdim_kernel_extILj8ELj8ELj2EiiaaiiEEvb20rocsparse_direction_T3_S2_llNS_24const_host_device_scalarIT7_EEPKT2_PKS2_PKT4_S2_PKT5_llS5_PT6_ll16rocsparse_order_21rocsparse_index_base_b.has_indirect_call, 0
	.section	.AMDGPU.csdata,"",@progbits
; Kernel info:
; codeLenInByte = 1736
; TotalNumSgprs: 32
; NumVgprs: 26
; ScratchSize: 0
; MemoryBound: 0
; FloatMode: 240
; IeeeMode: 1
; LDSByteSize: 768 bytes/workgroup (compile time only)
; SGPRBlocks: 0
; VGPRBlocks: 1
; NumSGPRsForWavesPerEU: 32
; NumVGPRsForWavesPerEU: 26
; NamedBarCnt: 0
; Occupancy: 16
; WaveLimiterHint : 1
; COMPUTE_PGM_RSRC2:SCRATCH_EN: 0
; COMPUTE_PGM_RSRC2:USER_SGPR: 2
; COMPUTE_PGM_RSRC2:TRAP_HANDLER: 0
; COMPUTE_PGM_RSRC2:TGID_X_EN: 1
; COMPUTE_PGM_RSRC2:TGID_Y_EN: 1
; COMPUTE_PGM_RSRC2:TGID_Z_EN: 0
; COMPUTE_PGM_RSRC2:TIDIG_COMP_CNT: 1
	.section	.text._ZN9rocsparseL31bsrmm_large_blockdim_kernel_extILj4ELj16ELj2EiiaaiiEEvb20rocsparse_direction_T3_S2_llNS_24const_host_device_scalarIT7_EEPKT2_PKS2_PKT4_S2_PKT5_llS5_PT6_ll16rocsparse_order_21rocsparse_index_base_b,"axG",@progbits,_ZN9rocsparseL31bsrmm_large_blockdim_kernel_extILj4ELj16ELj2EiiaaiiEEvb20rocsparse_direction_T3_S2_llNS_24const_host_device_scalarIT7_EEPKT2_PKS2_PKT4_S2_PKT5_llS5_PT6_ll16rocsparse_order_21rocsparse_index_base_b,comdat
	.globl	_ZN9rocsparseL31bsrmm_large_blockdim_kernel_extILj4ELj16ELj2EiiaaiiEEvb20rocsparse_direction_T3_S2_llNS_24const_host_device_scalarIT7_EEPKT2_PKS2_PKT4_S2_PKT5_llS5_PT6_ll16rocsparse_order_21rocsparse_index_base_b ; -- Begin function _ZN9rocsparseL31bsrmm_large_blockdim_kernel_extILj4ELj16ELj2EiiaaiiEEvb20rocsparse_direction_T3_S2_llNS_24const_host_device_scalarIT7_EEPKT2_PKS2_PKT4_S2_PKT5_llS5_PT6_ll16rocsparse_order_21rocsparse_index_base_b
	.p2align	8
	.type	_ZN9rocsparseL31bsrmm_large_blockdim_kernel_extILj4ELj16ELj2EiiaaiiEEvb20rocsparse_direction_T3_S2_llNS_24const_host_device_scalarIT7_EEPKT2_PKS2_PKT4_S2_PKT5_llS5_PT6_ll16rocsparse_order_21rocsparse_index_base_b,@function
_ZN9rocsparseL31bsrmm_large_blockdim_kernel_extILj4ELj16ELj2EiiaaiiEEvb20rocsparse_direction_T3_S2_llNS_24const_host_device_scalarIT7_EEPKT2_PKS2_PKT4_S2_PKT5_llS5_PT6_ll16rocsparse_order_21rocsparse_index_base_b: ; @_ZN9rocsparseL31bsrmm_large_blockdim_kernel_extILj4ELj16ELj2EiiaaiiEEvb20rocsparse_direction_T3_S2_llNS_24const_host_device_scalarIT7_EEPKT2_PKS2_PKT4_S2_PKT5_llS5_PT6_ll16rocsparse_order_21rocsparse_index_base_b
; %bb.0:
	s_clause 0x1
	s_load_b96 s[20:22], s[0:1], 0x80
	s_load_b64 s[4:5], s[0:1], 0x20
	s_mov_b32 s7, -1
                                        ; implicit-def: $sgpr24
	s_wait_kmcnt 0x0
	s_bitcmp1_b32 s22, 0
	s_cselect_b32 s2, -1, 0
	s_delay_alu instid0(SALU_CYCLE_1) | instskip(NEXT) | instid1(SALU_CYCLE_1)
	s_xor_b32 s6, s2, -1
	s_and_b32 vcc_lo, exec_lo, s6
	s_cbranch_vccnz .LBB61_4
; %bb.1:
	s_load_b64 s[2:3], s[0:1], 0x60
	s_and_not1_b32 vcc_lo, exec_lo, s7
	s_cbranch_vccz .LBB61_5
.LBB61_2:
	s_and_b32 vcc_lo, exec_lo, s6
	s_cbranch_vccz .LBB61_6
.LBB61_3:
	s_wait_kmcnt 0x0
	s_load_b32 s25, s[2:3], 0x0
	s_wait_xcnt 0x0
	s_cbranch_execz .LBB61_7
	s_branch .LBB61_8
.LBB61_4:
	s_load_b32 s24, s[4:5], 0x0
	s_load_b64 s[2:3], s[0:1], 0x60
	s_cbranch_execnz .LBB61_2
.LBB61_5:
	s_wait_kmcnt 0x0
	s_mov_b32 s24, s4
	s_and_b32 vcc_lo, exec_lo, s6
	s_cbranch_vccnz .LBB61_3
.LBB61_6:
	s_wait_kmcnt 0x0
                                        ; implicit-def: $sgpr25
.LBB61_7:
	s_wait_kmcnt 0x0
	s_mov_b32 s25, s2
.LBB61_8:
	s_cmp_eq_u32 s24, 0
	s_mov_b32 s22, 0
	s_cselect_b32 s2, -1, 0
	s_wait_kmcnt 0x0
	s_cmp_eq_u32 s25, 1
	s_cselect_b32 s3, -1, 0
	s_delay_alu instid0(SALU_CYCLE_1) | instskip(NEXT) | instid1(SALU_CYCLE_1)
	s_and_b32 s2, s2, s3
	s_and_b32 vcc_lo, exec_lo, s2
	s_cbranch_vccnz .LBB61_52
; %bb.9:
	s_clause 0x1
	s_load_b128 s[8:11], s[0:1], 0x0
	s_load_b64 s[2:3], s[0:1], 0x28
	s_bfe_u32 s4, ttmp6, 0x4000c
	s_and_b32 s5, ttmp6, 15
	s_add_co_i32 s4, s4, 1
	s_delay_alu instid0(SALU_CYCLE_1)
	s_mul_i32 s6, ttmp9, s4
	s_getreg_b32 s4, hwreg(HW_REG_IB_STS2, 6, 4)
	s_add_co_i32 s5, s5, s6
	s_cmp_eq_u32 s4, 0
	s_cselect_b32 s6, ttmp9, s5
	s_wait_kmcnt 0x0
	s_cmp_lt_i32 s6, s10
	s_cselect_b32 s26, -1, 0
	s_cmp_ge_i32 s6, s10
	s_cbranch_scc1 .LBB61_11
; %bb.10:
	s_ashr_i32 s7, s6, 31
	s_delay_alu instid0(SALU_CYCLE_1) | instskip(NEXT) | instid1(SALU_CYCLE_1)
	s_lshl_b64 s[12:13], s[6:7], 2
	s_add_nc_u64 s[12:13], s[2:3], s[12:13]
	s_load_b32 s5, s[12:13], 0x0
	s_wait_kmcnt 0x0
	s_sub_co_i32 s22, s5, s21
.LBB61_11:
	s_and_not1_b32 vcc_lo, exec_lo, s26
	s_mov_b32 s10, 0
	s_cbranch_vccnz .LBB61_13
; %bb.12:
	s_ashr_i32 s7, s6, 31
	s_delay_alu instid0(SALU_CYCLE_1) | instskip(NEXT) | instid1(SALU_CYCLE_1)
	s_lshl_b64 s[12:13], s[6:7], 2
	s_add_nc_u64 s[2:3], s[2:3], s[12:13]
	s_load_b32 s2, s[2:3], 0x4
	s_wait_kmcnt 0x0
	s_sub_co_i32 s10, s2, s21
.LBB61_13:
	s_bfe_u32 s2, ttmp6, 0x40010
	s_bfe_u32 s3, ttmp6, 0x40004
	s_add_co_i32 s2, s2, 1
	s_load_b32 s7, s[0:1], 0x40
	s_mul_i32 s2, ttmp7, s2
	v_bfe_u32 v2, v0, 10, 10
	s_add_co_i32 s3, s3, s2
	s_cmp_eq_u32 s4, 0
	v_and_b32_e32 v14, 0x3ff, v0
	s_cselect_b32 s2, ttmp7, s3
	s_cmp_ge_i32 s22, s10
	v_lshl_add_u32 v4, s2, 5, v2
	s_delay_alu instid0(VALU_DEP_1) | instskip(SKIP_1) | instid1(VALU_DEP_2)
	v_add_nc_u32_e32 v0, 16, v4
	v_cmp_gt_i32_e64 s2, s11, v4
	v_cmp_gt_i32_e64 s3, s11, v0
	s_wait_kmcnt 0x0
	v_cmp_gt_i32_e32 vcc_lo, s7, v14
	s_cbranch_scc1 .LBB61_31
; %bb.14:
	s_clause 0x1
	s_load_b128 s[12:15], s[0:1], 0x48
	s_load_b128 s[16:19], s[0:1], 0x30
	v_dual_ashrrev_i32 v5, 31, v4 :: v_dual_lshlrev_b32 v15, 4, v2
	v_dual_ashrrev_i32 v1, 31, v0 :: v_dual_lshlrev_b32 v12, 4, v14
	v_cmp_gt_i32_e64 s4, s7, v2
	v_mad_u32 v3, s7, v2, v14
	v_mad_u32 v10, s7, v14, v2
	v_lshl_add_u32 v11, v2, 2, 0x200
	v_lshlrev_b32_e32 v13, 2, v14
	s_and_b32 s27, vcc_lo, s4
	s_bitcmp1_b32 s8, 0
	v_add_nc_u32_e32 v17, 0x200, v12
	s_cselect_b32 s4, -1, 0
	s_cmp_eq_u32 s9, 0
	v_add_nc_u32_e32 v20, v11, v12
	s_cselect_b32 s5, -1, 0
	v_add_nc_u32_e32 v18, 0x100, v15
	v_dual_cndmask_b32 v16, v3, v10, s5 :: v_dual_add_nc_u32 v19, v13, v15
	s_wait_kmcnt 0x0
	v_mul_u64_e32 v[6:7], s[14:15], v[4:5]
	v_mul_u64_e32 v[8:9], s[14:15], v[0:1]
	v_mov_b64_e32 v[2:3], 0
	s_mul_i32 s5, s7, s7
	s_branch .LBB61_17
.LBB61_15:                              ;   in Loop: Header=BB61_17 Depth=1
	s_or_b32 exec_lo, exec_lo, s9
.LBB61_16:                              ;   in Loop: Header=BB61_17 Depth=1
	s_delay_alu instid0(SALU_CYCLE_1) | instskip(SKIP_1) | instid1(SALU_CYCLE_1)
	s_or_b32 exec_lo, exec_lo, s8
	s_add_co_i32 s22, s22, 1
	s_cmp_ge_i32 s22, s10
	s_barrier_signal -1
	s_barrier_wait -1
	s_cbranch_scc1 .LBB61_32
.LBB61_17:                              ; =>This Loop Header: Depth=1
                                        ;     Child Loop BB61_27 Depth 2
                                        ;     Child Loop BB61_30 Depth 2
	s_and_saveexec_b32 s8, vcc_lo
	s_cbranch_execz .LBB61_22
; %bb.18:                               ;   in Loop: Header=BB61_17 Depth=1
	s_ashr_i32 s23, s22, 31
	s_delay_alu instid0(SALU_CYCLE_1) | instskip(NEXT) | instid1(SALU_CYCLE_1)
	s_lshl_b64 s[28:29], s[22:23], 2
	s_add_nc_u64 s[28:29], s[16:17], s[28:29]
	s_load_b32 s9, s[28:29], 0x0
	s_wait_kmcnt 0x0
	s_sub_co_i32 s9, s9, s21
	s_delay_alu instid0(SALU_CYCLE_1) | instskip(NEXT) | instid1(VALU_DEP_1)
	v_mad_u32 v12, s9, s7, v14
	v_mad_nc_u64_u32 v[10:11], s14, v12, s[12:13]
	v_ashrrev_i32_e32 v13, 31, v12
	s_delay_alu instid0(VALU_DEP_2) | instskip(NEXT) | instid1(VALU_DEP_1)
	v_mad_u32 v11, s15, v12, v11
	v_mad_u32 v11, s14, v13, v11
	v_add_nc_u64_e32 v[12:13], s[12:13], v[12:13]
	s_and_saveexec_b32 s9, s2
	s_cbranch_execz .LBB61_20
; %bb.19:                               ;   in Loop: Header=BB61_17 Depth=1
	s_delay_alu instid0(VALU_DEP_2) | instskip(NEXT) | instid1(VALU_DEP_2)
	v_add_nc_u64_e32 v[22:23], v[10:11], v[4:5]
	v_add_nc_u64_e32 v[24:25], v[12:13], v[6:7]
	s_delay_alu instid0(VALU_DEP_1)
	v_dual_cndmask_b32 v23, v23, v25, s4 :: v_dual_cndmask_b32 v22, v22, v24, s4
	global_load_i8 v21, v[22:23], off
	s_wait_loadcnt 0x0
	ds_store_b32 v19, v21
.LBB61_20:                              ;   in Loop: Header=BB61_17 Depth=1
	s_or_b32 exec_lo, exec_lo, s9
	s_delay_alu instid0(SALU_CYCLE_1)
	s_and_b32 exec_lo, exec_lo, s3
	s_cbranch_execz .LBB61_22
; %bb.21:                               ;   in Loop: Header=BB61_17 Depth=1
	s_delay_alu instid0(VALU_DEP_1) | instskip(NEXT) | instid1(VALU_DEP_3)
	v_add_nc_u64_e32 v[12:13], v[12:13], v[8:9]
	v_add_nc_u64_e32 v[10:11], v[10:11], v[0:1]
	s_delay_alu instid0(VALU_DEP_1)
	v_dual_cndmask_b32 v11, v11, v13, s4 :: v_dual_cndmask_b32 v10, v10, v12, s4
	global_load_i8 v10, v[10:11], off
	s_wait_loadcnt 0x0
	ds_store_b32 v19, v10 offset:256
.LBB61_22:                              ;   in Loop: Header=BB61_17 Depth=1
	s_or_b32 exec_lo, exec_lo, s8
	s_and_saveexec_b32 s8, s27
	s_cbranch_execz .LBB61_24
; %bb.23:                               ;   in Loop: Header=BB61_17 Depth=1
	v_mad_u32 v10, s5, s22, v16
	global_load_i8 v10, v10, s[18:19]
	s_wait_loadcnt 0x0
	ds_store_b32 v20, v10
.LBB61_24:                              ;   in Loop: Header=BB61_17 Depth=1
	s_or_b32 exec_lo, exec_lo, s8
	s_wait_dscnt 0x0
	s_barrier_signal -1
	s_barrier_wait -1
	s_and_saveexec_b32 s8, vcc_lo
	s_cbranch_execz .LBB61_16
; %bb.25:                               ;   in Loop: Header=BB61_17 Depth=1
	s_and_saveexec_b32 s9, s2
	s_cbranch_execz .LBB61_28
; %bb.26:                               ;   in Loop: Header=BB61_17 Depth=1
	v_dual_mov_b32 v10, v17 :: v_dual_mov_b32 v11, v15
	s_mov_b32 s23, s7
.LBB61_27:                              ;   Parent Loop BB61_17 Depth=1
                                        ; =>  This Inner Loop Header: Depth=2
	ds_load_b32 v12, v10
	ds_load_b32 v13, v11
	v_dual_add_nc_u32 v11, 4, v11 :: v_dual_add_nc_u32 v10, 4, v10
	s_add_co_i32 s23, s23, -1
	s_delay_alu instid0(SALU_CYCLE_1)
	s_cmp_lg_u32 s23, 0
	s_wait_dscnt 0x0
	v_mad_u32 v2, v13, v12, v2
	s_cbranch_scc1 .LBB61_27
.LBB61_28:                              ;   in Loop: Header=BB61_17 Depth=1
	s_or_b32 exec_lo, exec_lo, s9
	s_and_saveexec_b32 s9, s3
	s_cbranch_execz .LBB61_15
; %bb.29:                               ;   in Loop: Header=BB61_17 Depth=1
	v_dual_mov_b32 v10, v17 :: v_dual_mov_b32 v11, v18
	s_mov_b32 s23, s7
.LBB61_30:                              ;   Parent Loop BB61_17 Depth=1
                                        ; =>  This Inner Loop Header: Depth=2
	ds_load_b32 v12, v10
	ds_load_b32 v13, v11
	v_dual_add_nc_u32 v11, 4, v11 :: v_dual_add_nc_u32 v10, 4, v10
	s_add_co_i32 s23, s23, -1
	s_delay_alu instid0(SALU_CYCLE_1)
	s_cmp_lg_u32 s23, 0
	s_wait_dscnt 0x0
	v_mad_u32 v3, v13, v12, v3
	s_cbranch_scc1 .LBB61_30
	s_branch .LBB61_15
.LBB61_31:
	v_mov_b64_e32 v[2:3], 0
.LBB61_32:
	s_load_b64 s[4:5], s[0:1], 0x68
	s_and_b32 s2, s26, vcc_lo
	s_delay_alu instid0(SALU_CYCLE_1)
	s_and_saveexec_b32 s3, s2
	s_cbranch_execz .LBB61_52
; %bb.33:
	s_load_b64 s[2:3], s[0:1], 0x70
	v_mad_u32 v6, s7, s6, v14
	s_cmp_lg_u32 s25, 0
	s_wait_xcnt 0x0
	s_mov_b32 s0, exec_lo
	s_cselect_b32 s6, -1, 0
	s_cmp_lg_u32 s20, 1
	s_cselect_b32 s1, -1, 0
	s_delay_alu instid0(VALU_DEP_1) | instskip(SKIP_1) | instid1(VALU_DEP_1)
	v_ashrrev_i32_e32 v7, 31, v6
	s_wait_kmcnt 0x0
	v_mul_u64_e32 v[8:9], s[2:3], v[6:7]
	v_lshl_add_u64 v[6:7], v[6:7], 2, s[4:5]
	s_delay_alu instid0(VALU_DEP_2)
	v_lshl_add_u64 v[8:9], v[8:9], 2, s[4:5]
	v_cmpx_gt_i32_e64 s11, v4
	s_cbranch_execz .LBB61_45
; %bb.34:
	v_ashrrev_i32_e32 v5, 31, v4
	s_and_b32 vcc_lo, exec_lo, s6
	s_cbranch_vccz .LBB61_40
; %bb.35:
	s_and_b32 vcc_lo, exec_lo, s1
	s_mov_b32 s4, -1
	s_cbranch_vccz .LBB61_37
; %bb.36:
	v_lshl_add_u64 v[10:11], v[4:5], 2, v[8:9]
	v_mul_lo_u32 v12, v2, s24
	s_mov_b32 s4, 0
	global_load_b32 v1, v[10:11], off
	s_wait_loadcnt 0x0
	v_mad_u32 v1, v1, s25, v12
	global_store_b32 v[10:11], v1, off
.LBB61_37:
	s_and_not1_b32 vcc_lo, exec_lo, s4
	s_cbranch_vccnz .LBB61_39
; %bb.38:
	s_wait_xcnt 0x0
	v_mul_u64_e32 v[10:11], s[2:3], v[4:5]
	v_mul_lo_u32 v12, v2, s24
	s_delay_alu instid0(VALU_DEP_2)
	v_lshl_add_u64 v[10:11], v[10:11], 2, v[6:7]
	global_load_b32 v1, v[10:11], off
	s_wait_loadcnt 0x0
	v_mad_u32 v1, v1, s25, v12
	global_store_b32 v[10:11], v1, off
.LBB61_39:
	s_cbranch_execz .LBB61_41
	s_branch .LBB61_45
.LBB61_40:
.LBB61_41:
	s_wait_xcnt 0x0
	v_mul_lo_u32 v1, v2, s24
	s_and_b32 vcc_lo, exec_lo, s1
	s_mov_b32 s4, -1
	s_cbranch_vccz .LBB61_43
; %bb.42:
	v_lshl_add_u64 v[10:11], v[4:5], 2, v[8:9]
	s_mov_b32 s4, 0
	global_store_b32 v[10:11], v1, off
.LBB61_43:
	s_and_not1_b32 vcc_lo, exec_lo, s4
	s_cbranch_vccnz .LBB61_45
; %bb.44:
	v_mul_u64_e32 v[4:5], s[2:3], v[4:5]
	s_delay_alu instid0(VALU_DEP_1)
	v_lshl_add_u64 v[4:5], v[4:5], 2, v[6:7]
	global_store_b32 v[4:5], v1, off
.LBB61_45:
	s_wait_xcnt 0x0
	s_or_b32 exec_lo, exec_lo, s0
	v_cmp_gt_i32_e32 vcc_lo, s11, v0
	s_and_b32 exec_lo, exec_lo, vcc_lo
	s_cbranch_execz .LBB61_52
; %bb.46:
	v_cndmask_b32_e64 v2, 0, 1, s1
	v_ashrrev_i32_e32 v1, 31, v0
	s_and_not1_b32 vcc_lo, exec_lo, s6
	s_delay_alu instid0(VALU_DEP_2)
	v_cmp_ne_u32_e64 s0, 1, v2
	s_cbranch_vccnz .LBB61_53
; %bb.47:
	s_and_b32 vcc_lo, exec_lo, s0
	s_mov_b32 s0, -1
	s_cbranch_vccnz .LBB61_49
; %bb.48:
	v_lshl_add_u64 v[4:5], v[0:1], 2, v[8:9]
	v_mul_lo_u32 v10, v3, s24
	s_mov_b32 s0, 0
	global_load_b32 v2, v[4:5], off
	s_wait_loadcnt 0x0
	v_mad_u32 v2, v2, s25, v10
	global_store_b32 v[4:5], v2, off
.LBB61_49:
	s_and_not1_b32 vcc_lo, exec_lo, s0
	s_cbranch_vccnz .LBB61_51
; %bb.50:
	s_wait_xcnt 0x0
	v_mul_u64_e32 v[4:5], s[2:3], v[0:1]
	v_mul_lo_u32 v10, v3, s24
	s_delay_alu instid0(VALU_DEP_2)
	v_lshl_add_u64 v[4:5], v[4:5], 2, v[6:7]
	global_load_b32 v2, v[4:5], off
	s_wait_loadcnt 0x0
	v_mad_u32 v2, v2, s25, v10
	global_store_b32 v[4:5], v2, off
.LBB61_51:
	s_cbranch_execz .LBB61_54
.LBB61_52:
	s_endpgm
.LBB61_53:
.LBB61_54:
	s_wait_xcnt 0x0
	v_mul_lo_u32 v2, v3, s24
	s_and_not1_b32 vcc_lo, exec_lo, s1
	s_mov_b32 s0, -1
	s_cbranch_vccnz .LBB61_56
; %bb.55:
	v_lshl_add_u64 v[4:5], v[0:1], 2, v[8:9]
	s_mov_b32 s0, 0
	global_store_b32 v[4:5], v2, off
.LBB61_56:
	s_and_not1_b32 vcc_lo, exec_lo, s0
	s_cbranch_vccnz .LBB61_52
; %bb.57:
	v_mul_u64_e32 v[0:1], s[2:3], v[0:1]
	s_delay_alu instid0(VALU_DEP_1)
	v_lshl_add_u64 v[0:1], v[0:1], 2, v[6:7]
	global_store_b32 v[0:1], v2, off
	s_endpgm
	.section	.rodata,"a",@progbits
	.p2align	6, 0x0
	.amdhsa_kernel _ZN9rocsparseL31bsrmm_large_blockdim_kernel_extILj4ELj16ELj2EiiaaiiEEvb20rocsparse_direction_T3_S2_llNS_24const_host_device_scalarIT7_EEPKT2_PKS2_PKT4_S2_PKT5_llS5_PT6_ll16rocsparse_order_21rocsparse_index_base_b
		.amdhsa_group_segment_fixed_size 576
		.amdhsa_private_segment_fixed_size 0
		.amdhsa_kernarg_size 140
		.amdhsa_user_sgpr_count 2
		.amdhsa_user_sgpr_dispatch_ptr 0
		.amdhsa_user_sgpr_queue_ptr 0
		.amdhsa_user_sgpr_kernarg_segment_ptr 1
		.amdhsa_user_sgpr_dispatch_id 0
		.amdhsa_user_sgpr_kernarg_preload_length 0
		.amdhsa_user_sgpr_kernarg_preload_offset 0
		.amdhsa_user_sgpr_private_segment_size 0
		.amdhsa_wavefront_size32 1
		.amdhsa_uses_dynamic_stack 0
		.amdhsa_enable_private_segment 0
		.amdhsa_system_sgpr_workgroup_id_x 1
		.amdhsa_system_sgpr_workgroup_id_y 1
		.amdhsa_system_sgpr_workgroup_id_z 0
		.amdhsa_system_sgpr_workgroup_info 0
		.amdhsa_system_vgpr_workitem_id 1
		.amdhsa_next_free_vgpr 26
		.amdhsa_next_free_sgpr 30
		.amdhsa_named_barrier_count 0
		.amdhsa_reserve_vcc 1
		.amdhsa_float_round_mode_32 0
		.amdhsa_float_round_mode_16_64 0
		.amdhsa_float_denorm_mode_32 3
		.amdhsa_float_denorm_mode_16_64 3
		.amdhsa_fp16_overflow 0
		.amdhsa_memory_ordered 1
		.amdhsa_forward_progress 1
		.amdhsa_inst_pref_size 14
		.amdhsa_round_robin_scheduling 0
		.amdhsa_exception_fp_ieee_invalid_op 0
		.amdhsa_exception_fp_denorm_src 0
		.amdhsa_exception_fp_ieee_div_zero 0
		.amdhsa_exception_fp_ieee_overflow 0
		.amdhsa_exception_fp_ieee_underflow 0
		.amdhsa_exception_fp_ieee_inexact 0
		.amdhsa_exception_int_div_zero 0
	.end_amdhsa_kernel
	.section	.text._ZN9rocsparseL31bsrmm_large_blockdim_kernel_extILj4ELj16ELj2EiiaaiiEEvb20rocsparse_direction_T3_S2_llNS_24const_host_device_scalarIT7_EEPKT2_PKS2_PKT4_S2_PKT5_llS5_PT6_ll16rocsparse_order_21rocsparse_index_base_b,"axG",@progbits,_ZN9rocsparseL31bsrmm_large_blockdim_kernel_extILj4ELj16ELj2EiiaaiiEEvb20rocsparse_direction_T3_S2_llNS_24const_host_device_scalarIT7_EEPKT2_PKS2_PKT4_S2_PKT5_llS5_PT6_ll16rocsparse_order_21rocsparse_index_base_b,comdat
.Lfunc_end61:
	.size	_ZN9rocsparseL31bsrmm_large_blockdim_kernel_extILj4ELj16ELj2EiiaaiiEEvb20rocsparse_direction_T3_S2_llNS_24const_host_device_scalarIT7_EEPKT2_PKS2_PKT4_S2_PKT5_llS5_PT6_ll16rocsparse_order_21rocsparse_index_base_b, .Lfunc_end61-_ZN9rocsparseL31bsrmm_large_blockdim_kernel_extILj4ELj16ELj2EiiaaiiEEvb20rocsparse_direction_T3_S2_llNS_24const_host_device_scalarIT7_EEPKT2_PKS2_PKT4_S2_PKT5_llS5_PT6_ll16rocsparse_order_21rocsparse_index_base_b
                                        ; -- End function
	.set _ZN9rocsparseL31bsrmm_large_blockdim_kernel_extILj4ELj16ELj2EiiaaiiEEvb20rocsparse_direction_T3_S2_llNS_24const_host_device_scalarIT7_EEPKT2_PKS2_PKT4_S2_PKT5_llS5_PT6_ll16rocsparse_order_21rocsparse_index_base_b.num_vgpr, 26
	.set _ZN9rocsparseL31bsrmm_large_blockdim_kernel_extILj4ELj16ELj2EiiaaiiEEvb20rocsparse_direction_T3_S2_llNS_24const_host_device_scalarIT7_EEPKT2_PKS2_PKT4_S2_PKT5_llS5_PT6_ll16rocsparse_order_21rocsparse_index_base_b.num_agpr, 0
	.set _ZN9rocsparseL31bsrmm_large_blockdim_kernel_extILj4ELj16ELj2EiiaaiiEEvb20rocsparse_direction_T3_S2_llNS_24const_host_device_scalarIT7_EEPKT2_PKS2_PKT4_S2_PKT5_llS5_PT6_ll16rocsparse_order_21rocsparse_index_base_b.numbered_sgpr, 30
	.set _ZN9rocsparseL31bsrmm_large_blockdim_kernel_extILj4ELj16ELj2EiiaaiiEEvb20rocsparse_direction_T3_S2_llNS_24const_host_device_scalarIT7_EEPKT2_PKS2_PKT4_S2_PKT5_llS5_PT6_ll16rocsparse_order_21rocsparse_index_base_b.num_named_barrier, 0
	.set _ZN9rocsparseL31bsrmm_large_blockdim_kernel_extILj4ELj16ELj2EiiaaiiEEvb20rocsparse_direction_T3_S2_llNS_24const_host_device_scalarIT7_EEPKT2_PKS2_PKT4_S2_PKT5_llS5_PT6_ll16rocsparse_order_21rocsparse_index_base_b.private_seg_size, 0
	.set _ZN9rocsparseL31bsrmm_large_blockdim_kernel_extILj4ELj16ELj2EiiaaiiEEvb20rocsparse_direction_T3_S2_llNS_24const_host_device_scalarIT7_EEPKT2_PKS2_PKT4_S2_PKT5_llS5_PT6_ll16rocsparse_order_21rocsparse_index_base_b.uses_vcc, 1
	.set _ZN9rocsparseL31bsrmm_large_blockdim_kernel_extILj4ELj16ELj2EiiaaiiEEvb20rocsparse_direction_T3_S2_llNS_24const_host_device_scalarIT7_EEPKT2_PKS2_PKT4_S2_PKT5_llS5_PT6_ll16rocsparse_order_21rocsparse_index_base_b.uses_flat_scratch, 0
	.set _ZN9rocsparseL31bsrmm_large_blockdim_kernel_extILj4ELj16ELj2EiiaaiiEEvb20rocsparse_direction_T3_S2_llNS_24const_host_device_scalarIT7_EEPKT2_PKS2_PKT4_S2_PKT5_llS5_PT6_ll16rocsparse_order_21rocsparse_index_base_b.has_dyn_sized_stack, 0
	.set _ZN9rocsparseL31bsrmm_large_blockdim_kernel_extILj4ELj16ELj2EiiaaiiEEvb20rocsparse_direction_T3_S2_llNS_24const_host_device_scalarIT7_EEPKT2_PKS2_PKT4_S2_PKT5_llS5_PT6_ll16rocsparse_order_21rocsparse_index_base_b.has_recursion, 0
	.set _ZN9rocsparseL31bsrmm_large_blockdim_kernel_extILj4ELj16ELj2EiiaaiiEEvb20rocsparse_direction_T3_S2_llNS_24const_host_device_scalarIT7_EEPKT2_PKS2_PKT4_S2_PKT5_llS5_PT6_ll16rocsparse_order_21rocsparse_index_base_b.has_indirect_call, 0
	.section	.AMDGPU.csdata,"",@progbits
; Kernel info:
; codeLenInByte = 1736
; TotalNumSgprs: 32
; NumVgprs: 26
; ScratchSize: 0
; MemoryBound: 0
; FloatMode: 240
; IeeeMode: 1
; LDSByteSize: 576 bytes/workgroup (compile time only)
; SGPRBlocks: 0
; VGPRBlocks: 1
; NumSGPRsForWavesPerEU: 32
; NumVGPRsForWavesPerEU: 26
; NamedBarCnt: 0
; Occupancy: 16
; WaveLimiterHint : 1
; COMPUTE_PGM_RSRC2:SCRATCH_EN: 0
; COMPUTE_PGM_RSRC2:USER_SGPR: 2
; COMPUTE_PGM_RSRC2:TRAP_HANDLER: 0
; COMPUTE_PGM_RSRC2:TGID_X_EN: 1
; COMPUTE_PGM_RSRC2:TGID_Y_EN: 1
; COMPUTE_PGM_RSRC2:TGID_Z_EN: 0
; COMPUTE_PGM_RSRC2:TIDIG_COMP_CNT: 1
	.section	.text._ZN9rocsparseL31bsrmm_large_blockdim_kernel_extILj16ELj16ELj2EiiaaiiEEvb20rocsparse_direction_T3_S2_llNS_24const_host_device_scalarIT7_EEPKT2_PKS2_PKT4_S2_PKT5_llS5_PT6_ll16rocsparse_order_21rocsparse_index_base_b,"axG",@progbits,_ZN9rocsparseL31bsrmm_large_blockdim_kernel_extILj16ELj16ELj2EiiaaiiEEvb20rocsparse_direction_T3_S2_llNS_24const_host_device_scalarIT7_EEPKT2_PKS2_PKT4_S2_PKT5_llS5_PT6_ll16rocsparse_order_21rocsparse_index_base_b,comdat
	.globl	_ZN9rocsparseL31bsrmm_large_blockdim_kernel_extILj16ELj16ELj2EiiaaiiEEvb20rocsparse_direction_T3_S2_llNS_24const_host_device_scalarIT7_EEPKT2_PKS2_PKT4_S2_PKT5_llS5_PT6_ll16rocsparse_order_21rocsparse_index_base_b ; -- Begin function _ZN9rocsparseL31bsrmm_large_blockdim_kernel_extILj16ELj16ELj2EiiaaiiEEvb20rocsparse_direction_T3_S2_llNS_24const_host_device_scalarIT7_EEPKT2_PKS2_PKT4_S2_PKT5_llS5_PT6_ll16rocsparse_order_21rocsparse_index_base_b
	.p2align	8
	.type	_ZN9rocsparseL31bsrmm_large_blockdim_kernel_extILj16ELj16ELj2EiiaaiiEEvb20rocsparse_direction_T3_S2_llNS_24const_host_device_scalarIT7_EEPKT2_PKS2_PKT4_S2_PKT5_llS5_PT6_ll16rocsparse_order_21rocsparse_index_base_b,@function
_ZN9rocsparseL31bsrmm_large_blockdim_kernel_extILj16ELj16ELj2EiiaaiiEEvb20rocsparse_direction_T3_S2_llNS_24const_host_device_scalarIT7_EEPKT2_PKS2_PKT4_S2_PKT5_llS5_PT6_ll16rocsparse_order_21rocsparse_index_base_b: ; @_ZN9rocsparseL31bsrmm_large_blockdim_kernel_extILj16ELj16ELj2EiiaaiiEEvb20rocsparse_direction_T3_S2_llNS_24const_host_device_scalarIT7_EEPKT2_PKS2_PKT4_S2_PKT5_llS5_PT6_ll16rocsparse_order_21rocsparse_index_base_b
; %bb.0:
	s_clause 0x1
	s_load_b96 s[20:22], s[0:1], 0x80
	s_load_b64 s[4:5], s[0:1], 0x20
	s_mov_b32 s7, -1
                                        ; implicit-def: $sgpr24
	s_wait_kmcnt 0x0
	s_bitcmp1_b32 s22, 0
	s_cselect_b32 s2, -1, 0
	s_delay_alu instid0(SALU_CYCLE_1) | instskip(NEXT) | instid1(SALU_CYCLE_1)
	s_xor_b32 s6, s2, -1
	s_and_b32 vcc_lo, exec_lo, s6
	s_cbranch_vccnz .LBB62_4
; %bb.1:
	s_load_b64 s[2:3], s[0:1], 0x60
	s_and_not1_b32 vcc_lo, exec_lo, s7
	s_cbranch_vccz .LBB62_5
.LBB62_2:
	s_and_b32 vcc_lo, exec_lo, s6
	s_cbranch_vccz .LBB62_6
.LBB62_3:
	s_wait_kmcnt 0x0
	s_load_b32 s25, s[2:3], 0x0
	s_wait_xcnt 0x0
	s_cbranch_execz .LBB62_7
	s_branch .LBB62_8
.LBB62_4:
	s_load_b32 s24, s[4:5], 0x0
	s_load_b64 s[2:3], s[0:1], 0x60
	s_cbranch_execnz .LBB62_2
.LBB62_5:
	s_wait_kmcnt 0x0
	s_mov_b32 s24, s4
	s_and_b32 vcc_lo, exec_lo, s6
	s_cbranch_vccnz .LBB62_3
.LBB62_6:
	s_wait_kmcnt 0x0
                                        ; implicit-def: $sgpr25
.LBB62_7:
	s_wait_kmcnt 0x0
	s_mov_b32 s25, s2
.LBB62_8:
	s_cmp_eq_u32 s24, 0
	s_mov_b32 s22, 0
	s_cselect_b32 s2, -1, 0
	s_wait_kmcnt 0x0
	s_cmp_eq_u32 s25, 1
	s_cselect_b32 s3, -1, 0
	s_delay_alu instid0(SALU_CYCLE_1) | instskip(NEXT) | instid1(SALU_CYCLE_1)
	s_and_b32 s2, s2, s3
	s_and_b32 vcc_lo, exec_lo, s2
	s_cbranch_vccnz .LBB62_52
; %bb.9:
	s_clause 0x1
	s_load_b128 s[8:11], s[0:1], 0x0
	s_load_b64 s[2:3], s[0:1], 0x28
	s_bfe_u32 s4, ttmp6, 0x4000c
	s_and_b32 s5, ttmp6, 15
	s_add_co_i32 s4, s4, 1
	s_delay_alu instid0(SALU_CYCLE_1)
	s_mul_i32 s6, ttmp9, s4
	s_getreg_b32 s4, hwreg(HW_REG_IB_STS2, 6, 4)
	s_add_co_i32 s5, s5, s6
	s_cmp_eq_u32 s4, 0
	s_cselect_b32 s6, ttmp9, s5
	s_wait_kmcnt 0x0
	s_cmp_lt_i32 s6, s10
	s_cselect_b32 s26, -1, 0
	s_cmp_ge_i32 s6, s10
	s_cbranch_scc1 .LBB62_11
; %bb.10:
	s_ashr_i32 s7, s6, 31
	s_delay_alu instid0(SALU_CYCLE_1) | instskip(NEXT) | instid1(SALU_CYCLE_1)
	s_lshl_b64 s[12:13], s[6:7], 2
	s_add_nc_u64 s[12:13], s[2:3], s[12:13]
	s_load_b32 s5, s[12:13], 0x0
	s_wait_kmcnt 0x0
	s_sub_co_i32 s22, s5, s21
.LBB62_11:
	s_and_not1_b32 vcc_lo, exec_lo, s26
	s_mov_b32 s10, 0
	s_cbranch_vccnz .LBB62_13
; %bb.12:
	s_ashr_i32 s7, s6, 31
	s_delay_alu instid0(SALU_CYCLE_1) | instskip(NEXT) | instid1(SALU_CYCLE_1)
	s_lshl_b64 s[12:13], s[6:7], 2
	s_add_nc_u64 s[2:3], s[2:3], s[12:13]
	s_load_b32 s2, s[2:3], 0x4
	s_wait_kmcnt 0x0
	s_sub_co_i32 s10, s2, s21
.LBB62_13:
	s_bfe_u32 s2, ttmp6, 0x40010
	s_bfe_u32 s3, ttmp6, 0x40004
	s_add_co_i32 s2, s2, 1
	s_load_b32 s7, s[0:1], 0x40
	s_mul_i32 s2, ttmp7, s2
	v_bfe_u32 v2, v0, 10, 10
	s_add_co_i32 s3, s3, s2
	s_cmp_eq_u32 s4, 0
	v_and_b32_e32 v14, 0x3ff, v0
	s_cselect_b32 s2, ttmp7, s3
	s_cmp_ge_i32 s22, s10
	v_lshl_add_u32 v4, s2, 5, v2
	s_delay_alu instid0(VALU_DEP_1) | instskip(SKIP_1) | instid1(VALU_DEP_2)
	v_add_nc_u32_e32 v0, 16, v4
	v_cmp_gt_i32_e64 s2, s11, v4
	v_cmp_gt_i32_e64 s3, s11, v0
	s_wait_kmcnt 0x0
	v_cmp_gt_i32_e32 vcc_lo, s7, v14
	s_cbranch_scc1 .LBB62_31
; %bb.14:
	s_clause 0x1
	s_load_b128 s[12:15], s[0:1], 0x48
	s_load_b128 s[16:19], s[0:1], 0x30
	v_dual_ashrrev_i32 v5, 31, v4 :: v_dual_lshlrev_b32 v15, 6, v2
	v_dual_ashrrev_i32 v1, 31, v0 :: v_dual_lshlrev_b32 v12, 6, v14
	v_cmp_gt_i32_e64 s4, s7, v2
	v_mad_u32 v3, s7, v2, v14
	v_mad_u32 v10, s7, v14, v2
	v_lshl_add_u32 v11, v2, 2, 0x800
	v_lshlrev_b32_e32 v13, 2, v14
	s_and_b32 s27, vcc_lo, s4
	s_bitcmp1_b32 s8, 0
	v_add_nc_u32_e32 v17, 0x800, v12
	s_cselect_b32 s4, -1, 0
	s_cmp_eq_u32 s9, 0
	v_add_nc_u32_e32 v20, v11, v12
	s_cselect_b32 s5, -1, 0
	v_add_nc_u32_e32 v18, 0x400, v15
	v_dual_cndmask_b32 v16, v3, v10, s5 :: v_dual_add_nc_u32 v19, v13, v15
	s_wait_kmcnt 0x0
	v_mul_u64_e32 v[6:7], s[14:15], v[4:5]
	v_mul_u64_e32 v[8:9], s[14:15], v[0:1]
	v_mov_b64_e32 v[2:3], 0
	s_mul_i32 s5, s7, s7
	s_branch .LBB62_17
.LBB62_15:                              ;   in Loop: Header=BB62_17 Depth=1
	s_or_b32 exec_lo, exec_lo, s9
.LBB62_16:                              ;   in Loop: Header=BB62_17 Depth=1
	s_delay_alu instid0(SALU_CYCLE_1) | instskip(SKIP_1) | instid1(SALU_CYCLE_1)
	s_or_b32 exec_lo, exec_lo, s8
	s_add_co_i32 s22, s22, 1
	s_cmp_ge_i32 s22, s10
	s_barrier_signal -1
	s_barrier_wait -1
	s_cbranch_scc1 .LBB62_32
.LBB62_17:                              ; =>This Loop Header: Depth=1
                                        ;     Child Loop BB62_27 Depth 2
                                        ;     Child Loop BB62_30 Depth 2
	s_and_saveexec_b32 s8, vcc_lo
	s_cbranch_execz .LBB62_22
; %bb.18:                               ;   in Loop: Header=BB62_17 Depth=1
	s_ashr_i32 s23, s22, 31
	s_delay_alu instid0(SALU_CYCLE_1) | instskip(NEXT) | instid1(SALU_CYCLE_1)
	s_lshl_b64 s[28:29], s[22:23], 2
	s_add_nc_u64 s[28:29], s[16:17], s[28:29]
	s_load_b32 s9, s[28:29], 0x0
	s_wait_kmcnt 0x0
	s_sub_co_i32 s9, s9, s21
	s_delay_alu instid0(SALU_CYCLE_1) | instskip(NEXT) | instid1(VALU_DEP_1)
	v_mad_u32 v12, s9, s7, v14
	v_mad_nc_u64_u32 v[10:11], s14, v12, s[12:13]
	v_ashrrev_i32_e32 v13, 31, v12
	s_delay_alu instid0(VALU_DEP_2) | instskip(NEXT) | instid1(VALU_DEP_1)
	v_mad_u32 v11, s15, v12, v11
	v_mad_u32 v11, s14, v13, v11
	v_add_nc_u64_e32 v[12:13], s[12:13], v[12:13]
	s_and_saveexec_b32 s9, s2
	s_cbranch_execz .LBB62_20
; %bb.19:                               ;   in Loop: Header=BB62_17 Depth=1
	s_delay_alu instid0(VALU_DEP_2) | instskip(NEXT) | instid1(VALU_DEP_2)
	v_add_nc_u64_e32 v[22:23], v[10:11], v[4:5]
	v_add_nc_u64_e32 v[24:25], v[12:13], v[6:7]
	s_delay_alu instid0(VALU_DEP_1)
	v_dual_cndmask_b32 v23, v23, v25, s4 :: v_dual_cndmask_b32 v22, v22, v24, s4
	global_load_i8 v21, v[22:23], off
	s_wait_loadcnt 0x0
	ds_store_b32 v19, v21
.LBB62_20:                              ;   in Loop: Header=BB62_17 Depth=1
	s_or_b32 exec_lo, exec_lo, s9
	s_delay_alu instid0(SALU_CYCLE_1)
	s_and_b32 exec_lo, exec_lo, s3
	s_cbranch_execz .LBB62_22
; %bb.21:                               ;   in Loop: Header=BB62_17 Depth=1
	s_delay_alu instid0(VALU_DEP_1) | instskip(NEXT) | instid1(VALU_DEP_3)
	v_add_nc_u64_e32 v[12:13], v[12:13], v[8:9]
	v_add_nc_u64_e32 v[10:11], v[10:11], v[0:1]
	s_delay_alu instid0(VALU_DEP_1)
	v_dual_cndmask_b32 v11, v11, v13, s4 :: v_dual_cndmask_b32 v10, v10, v12, s4
	global_load_i8 v10, v[10:11], off
	s_wait_loadcnt 0x0
	ds_store_b32 v19, v10 offset:1024
.LBB62_22:                              ;   in Loop: Header=BB62_17 Depth=1
	s_or_b32 exec_lo, exec_lo, s8
	s_and_saveexec_b32 s8, s27
	s_cbranch_execz .LBB62_24
; %bb.23:                               ;   in Loop: Header=BB62_17 Depth=1
	v_mad_u32 v10, s5, s22, v16
	global_load_i8 v10, v10, s[18:19]
	s_wait_loadcnt 0x0
	ds_store_b32 v20, v10
.LBB62_24:                              ;   in Loop: Header=BB62_17 Depth=1
	s_or_b32 exec_lo, exec_lo, s8
	s_wait_dscnt 0x0
	s_barrier_signal -1
	s_barrier_wait -1
	s_and_saveexec_b32 s8, vcc_lo
	s_cbranch_execz .LBB62_16
; %bb.25:                               ;   in Loop: Header=BB62_17 Depth=1
	s_and_saveexec_b32 s9, s2
	s_cbranch_execz .LBB62_28
; %bb.26:                               ;   in Loop: Header=BB62_17 Depth=1
	v_dual_mov_b32 v10, v17 :: v_dual_mov_b32 v11, v15
	s_mov_b32 s23, s7
.LBB62_27:                              ;   Parent Loop BB62_17 Depth=1
                                        ; =>  This Inner Loop Header: Depth=2
	ds_load_b32 v12, v10
	ds_load_b32 v13, v11
	v_dual_add_nc_u32 v11, 4, v11 :: v_dual_add_nc_u32 v10, 4, v10
	s_add_co_i32 s23, s23, -1
	s_delay_alu instid0(SALU_CYCLE_1)
	s_cmp_lg_u32 s23, 0
	s_wait_dscnt 0x0
	v_mad_u32 v2, v13, v12, v2
	s_cbranch_scc1 .LBB62_27
.LBB62_28:                              ;   in Loop: Header=BB62_17 Depth=1
	s_or_b32 exec_lo, exec_lo, s9
	s_and_saveexec_b32 s9, s3
	s_cbranch_execz .LBB62_15
; %bb.29:                               ;   in Loop: Header=BB62_17 Depth=1
	v_dual_mov_b32 v10, v17 :: v_dual_mov_b32 v11, v18
	s_mov_b32 s23, s7
.LBB62_30:                              ;   Parent Loop BB62_17 Depth=1
                                        ; =>  This Inner Loop Header: Depth=2
	ds_load_b32 v12, v10
	ds_load_b32 v13, v11
	v_dual_add_nc_u32 v11, 4, v11 :: v_dual_add_nc_u32 v10, 4, v10
	s_add_co_i32 s23, s23, -1
	s_delay_alu instid0(SALU_CYCLE_1)
	s_cmp_lg_u32 s23, 0
	s_wait_dscnt 0x0
	v_mad_u32 v3, v13, v12, v3
	s_cbranch_scc1 .LBB62_30
	s_branch .LBB62_15
.LBB62_31:
	v_mov_b64_e32 v[2:3], 0
.LBB62_32:
	s_load_b64 s[4:5], s[0:1], 0x68
	s_and_b32 s2, s26, vcc_lo
	s_delay_alu instid0(SALU_CYCLE_1)
	s_and_saveexec_b32 s3, s2
	s_cbranch_execz .LBB62_52
; %bb.33:
	s_load_b64 s[2:3], s[0:1], 0x70
	v_mad_u32 v6, s7, s6, v14
	s_cmp_lg_u32 s25, 0
	s_wait_xcnt 0x0
	s_mov_b32 s0, exec_lo
	s_cselect_b32 s6, -1, 0
	s_cmp_lg_u32 s20, 1
	s_cselect_b32 s1, -1, 0
	s_delay_alu instid0(VALU_DEP_1) | instskip(SKIP_1) | instid1(VALU_DEP_1)
	v_ashrrev_i32_e32 v7, 31, v6
	s_wait_kmcnt 0x0
	v_mul_u64_e32 v[8:9], s[2:3], v[6:7]
	v_lshl_add_u64 v[6:7], v[6:7], 2, s[4:5]
	s_delay_alu instid0(VALU_DEP_2)
	v_lshl_add_u64 v[8:9], v[8:9], 2, s[4:5]
	v_cmpx_gt_i32_e64 s11, v4
	s_cbranch_execz .LBB62_45
; %bb.34:
	v_ashrrev_i32_e32 v5, 31, v4
	s_and_b32 vcc_lo, exec_lo, s6
	s_cbranch_vccz .LBB62_40
; %bb.35:
	s_and_b32 vcc_lo, exec_lo, s1
	s_mov_b32 s4, -1
	s_cbranch_vccz .LBB62_37
; %bb.36:
	v_lshl_add_u64 v[10:11], v[4:5], 2, v[8:9]
	v_mul_lo_u32 v12, v2, s24
	s_mov_b32 s4, 0
	global_load_b32 v1, v[10:11], off
	s_wait_loadcnt 0x0
	v_mad_u32 v1, v1, s25, v12
	global_store_b32 v[10:11], v1, off
.LBB62_37:
	s_and_not1_b32 vcc_lo, exec_lo, s4
	s_cbranch_vccnz .LBB62_39
; %bb.38:
	s_wait_xcnt 0x0
	v_mul_u64_e32 v[10:11], s[2:3], v[4:5]
	v_mul_lo_u32 v12, v2, s24
	s_delay_alu instid0(VALU_DEP_2)
	v_lshl_add_u64 v[10:11], v[10:11], 2, v[6:7]
	global_load_b32 v1, v[10:11], off
	s_wait_loadcnt 0x0
	v_mad_u32 v1, v1, s25, v12
	global_store_b32 v[10:11], v1, off
.LBB62_39:
	s_cbranch_execz .LBB62_41
	s_branch .LBB62_45
.LBB62_40:
.LBB62_41:
	s_wait_xcnt 0x0
	v_mul_lo_u32 v1, v2, s24
	s_and_b32 vcc_lo, exec_lo, s1
	s_mov_b32 s4, -1
	s_cbranch_vccz .LBB62_43
; %bb.42:
	v_lshl_add_u64 v[10:11], v[4:5], 2, v[8:9]
	s_mov_b32 s4, 0
	global_store_b32 v[10:11], v1, off
.LBB62_43:
	s_and_not1_b32 vcc_lo, exec_lo, s4
	s_cbranch_vccnz .LBB62_45
; %bb.44:
	v_mul_u64_e32 v[4:5], s[2:3], v[4:5]
	s_delay_alu instid0(VALU_DEP_1)
	v_lshl_add_u64 v[4:5], v[4:5], 2, v[6:7]
	global_store_b32 v[4:5], v1, off
.LBB62_45:
	s_wait_xcnt 0x0
	s_or_b32 exec_lo, exec_lo, s0
	v_cmp_gt_i32_e32 vcc_lo, s11, v0
	s_and_b32 exec_lo, exec_lo, vcc_lo
	s_cbranch_execz .LBB62_52
; %bb.46:
	v_cndmask_b32_e64 v2, 0, 1, s1
	v_ashrrev_i32_e32 v1, 31, v0
	s_and_not1_b32 vcc_lo, exec_lo, s6
	s_delay_alu instid0(VALU_DEP_2)
	v_cmp_ne_u32_e64 s0, 1, v2
	s_cbranch_vccnz .LBB62_53
; %bb.47:
	s_and_b32 vcc_lo, exec_lo, s0
	s_mov_b32 s0, -1
	s_cbranch_vccnz .LBB62_49
; %bb.48:
	v_lshl_add_u64 v[4:5], v[0:1], 2, v[8:9]
	v_mul_lo_u32 v10, v3, s24
	s_mov_b32 s0, 0
	global_load_b32 v2, v[4:5], off
	s_wait_loadcnt 0x0
	v_mad_u32 v2, v2, s25, v10
	global_store_b32 v[4:5], v2, off
.LBB62_49:
	s_and_not1_b32 vcc_lo, exec_lo, s0
	s_cbranch_vccnz .LBB62_51
; %bb.50:
	s_wait_xcnt 0x0
	v_mul_u64_e32 v[4:5], s[2:3], v[0:1]
	v_mul_lo_u32 v10, v3, s24
	s_delay_alu instid0(VALU_DEP_2)
	v_lshl_add_u64 v[4:5], v[4:5], 2, v[6:7]
	global_load_b32 v2, v[4:5], off
	s_wait_loadcnt 0x0
	v_mad_u32 v2, v2, s25, v10
	global_store_b32 v[4:5], v2, off
.LBB62_51:
	s_cbranch_execz .LBB62_54
.LBB62_52:
	s_endpgm
.LBB62_53:
.LBB62_54:
	s_wait_xcnt 0x0
	v_mul_lo_u32 v2, v3, s24
	s_and_not1_b32 vcc_lo, exec_lo, s1
	s_mov_b32 s0, -1
	s_cbranch_vccnz .LBB62_56
; %bb.55:
	v_lshl_add_u64 v[4:5], v[0:1], 2, v[8:9]
	s_mov_b32 s0, 0
	global_store_b32 v[4:5], v2, off
.LBB62_56:
	s_and_not1_b32 vcc_lo, exec_lo, s0
	s_cbranch_vccnz .LBB62_52
; %bb.57:
	v_mul_u64_e32 v[0:1], s[2:3], v[0:1]
	s_delay_alu instid0(VALU_DEP_1)
	v_lshl_add_u64 v[0:1], v[0:1], 2, v[6:7]
	global_store_b32 v[0:1], v2, off
	s_endpgm
	.section	.rodata,"a",@progbits
	.p2align	6, 0x0
	.amdhsa_kernel _ZN9rocsparseL31bsrmm_large_blockdim_kernel_extILj16ELj16ELj2EiiaaiiEEvb20rocsparse_direction_T3_S2_llNS_24const_host_device_scalarIT7_EEPKT2_PKS2_PKT4_S2_PKT5_llS5_PT6_ll16rocsparse_order_21rocsparse_index_base_b
		.amdhsa_group_segment_fixed_size 3072
		.amdhsa_private_segment_fixed_size 0
		.amdhsa_kernarg_size 140
		.amdhsa_user_sgpr_count 2
		.amdhsa_user_sgpr_dispatch_ptr 0
		.amdhsa_user_sgpr_queue_ptr 0
		.amdhsa_user_sgpr_kernarg_segment_ptr 1
		.amdhsa_user_sgpr_dispatch_id 0
		.amdhsa_user_sgpr_kernarg_preload_length 0
		.amdhsa_user_sgpr_kernarg_preload_offset 0
		.amdhsa_user_sgpr_private_segment_size 0
		.amdhsa_wavefront_size32 1
		.amdhsa_uses_dynamic_stack 0
		.amdhsa_enable_private_segment 0
		.amdhsa_system_sgpr_workgroup_id_x 1
		.amdhsa_system_sgpr_workgroup_id_y 1
		.amdhsa_system_sgpr_workgroup_id_z 0
		.amdhsa_system_sgpr_workgroup_info 0
		.amdhsa_system_vgpr_workitem_id 1
		.amdhsa_next_free_vgpr 26
		.amdhsa_next_free_sgpr 30
		.amdhsa_named_barrier_count 0
		.amdhsa_reserve_vcc 1
		.amdhsa_float_round_mode_32 0
		.amdhsa_float_round_mode_16_64 0
		.amdhsa_float_denorm_mode_32 3
		.amdhsa_float_denorm_mode_16_64 3
		.amdhsa_fp16_overflow 0
		.amdhsa_memory_ordered 1
		.amdhsa_forward_progress 1
		.amdhsa_inst_pref_size 14
		.amdhsa_round_robin_scheduling 0
		.amdhsa_exception_fp_ieee_invalid_op 0
		.amdhsa_exception_fp_denorm_src 0
		.amdhsa_exception_fp_ieee_div_zero 0
		.amdhsa_exception_fp_ieee_overflow 0
		.amdhsa_exception_fp_ieee_underflow 0
		.amdhsa_exception_fp_ieee_inexact 0
		.amdhsa_exception_int_div_zero 0
	.end_amdhsa_kernel
	.section	.text._ZN9rocsparseL31bsrmm_large_blockdim_kernel_extILj16ELj16ELj2EiiaaiiEEvb20rocsparse_direction_T3_S2_llNS_24const_host_device_scalarIT7_EEPKT2_PKS2_PKT4_S2_PKT5_llS5_PT6_ll16rocsparse_order_21rocsparse_index_base_b,"axG",@progbits,_ZN9rocsparseL31bsrmm_large_blockdim_kernel_extILj16ELj16ELj2EiiaaiiEEvb20rocsparse_direction_T3_S2_llNS_24const_host_device_scalarIT7_EEPKT2_PKS2_PKT4_S2_PKT5_llS5_PT6_ll16rocsparse_order_21rocsparse_index_base_b,comdat
.Lfunc_end62:
	.size	_ZN9rocsparseL31bsrmm_large_blockdim_kernel_extILj16ELj16ELj2EiiaaiiEEvb20rocsparse_direction_T3_S2_llNS_24const_host_device_scalarIT7_EEPKT2_PKS2_PKT4_S2_PKT5_llS5_PT6_ll16rocsparse_order_21rocsparse_index_base_b, .Lfunc_end62-_ZN9rocsparseL31bsrmm_large_blockdim_kernel_extILj16ELj16ELj2EiiaaiiEEvb20rocsparse_direction_T3_S2_llNS_24const_host_device_scalarIT7_EEPKT2_PKS2_PKT4_S2_PKT5_llS5_PT6_ll16rocsparse_order_21rocsparse_index_base_b
                                        ; -- End function
	.set _ZN9rocsparseL31bsrmm_large_blockdim_kernel_extILj16ELj16ELj2EiiaaiiEEvb20rocsparse_direction_T3_S2_llNS_24const_host_device_scalarIT7_EEPKT2_PKS2_PKT4_S2_PKT5_llS5_PT6_ll16rocsparse_order_21rocsparse_index_base_b.num_vgpr, 26
	.set _ZN9rocsparseL31bsrmm_large_blockdim_kernel_extILj16ELj16ELj2EiiaaiiEEvb20rocsparse_direction_T3_S2_llNS_24const_host_device_scalarIT7_EEPKT2_PKS2_PKT4_S2_PKT5_llS5_PT6_ll16rocsparse_order_21rocsparse_index_base_b.num_agpr, 0
	.set _ZN9rocsparseL31bsrmm_large_blockdim_kernel_extILj16ELj16ELj2EiiaaiiEEvb20rocsparse_direction_T3_S2_llNS_24const_host_device_scalarIT7_EEPKT2_PKS2_PKT4_S2_PKT5_llS5_PT6_ll16rocsparse_order_21rocsparse_index_base_b.numbered_sgpr, 30
	.set _ZN9rocsparseL31bsrmm_large_blockdim_kernel_extILj16ELj16ELj2EiiaaiiEEvb20rocsparse_direction_T3_S2_llNS_24const_host_device_scalarIT7_EEPKT2_PKS2_PKT4_S2_PKT5_llS5_PT6_ll16rocsparse_order_21rocsparse_index_base_b.num_named_barrier, 0
	.set _ZN9rocsparseL31bsrmm_large_blockdim_kernel_extILj16ELj16ELj2EiiaaiiEEvb20rocsparse_direction_T3_S2_llNS_24const_host_device_scalarIT7_EEPKT2_PKS2_PKT4_S2_PKT5_llS5_PT6_ll16rocsparse_order_21rocsparse_index_base_b.private_seg_size, 0
	.set _ZN9rocsparseL31bsrmm_large_blockdim_kernel_extILj16ELj16ELj2EiiaaiiEEvb20rocsparse_direction_T3_S2_llNS_24const_host_device_scalarIT7_EEPKT2_PKS2_PKT4_S2_PKT5_llS5_PT6_ll16rocsparse_order_21rocsparse_index_base_b.uses_vcc, 1
	.set _ZN9rocsparseL31bsrmm_large_blockdim_kernel_extILj16ELj16ELj2EiiaaiiEEvb20rocsparse_direction_T3_S2_llNS_24const_host_device_scalarIT7_EEPKT2_PKS2_PKT4_S2_PKT5_llS5_PT6_ll16rocsparse_order_21rocsparse_index_base_b.uses_flat_scratch, 0
	.set _ZN9rocsparseL31bsrmm_large_blockdim_kernel_extILj16ELj16ELj2EiiaaiiEEvb20rocsparse_direction_T3_S2_llNS_24const_host_device_scalarIT7_EEPKT2_PKS2_PKT4_S2_PKT5_llS5_PT6_ll16rocsparse_order_21rocsparse_index_base_b.has_dyn_sized_stack, 0
	.set _ZN9rocsparseL31bsrmm_large_blockdim_kernel_extILj16ELj16ELj2EiiaaiiEEvb20rocsparse_direction_T3_S2_llNS_24const_host_device_scalarIT7_EEPKT2_PKS2_PKT4_S2_PKT5_llS5_PT6_ll16rocsparse_order_21rocsparse_index_base_b.has_recursion, 0
	.set _ZN9rocsparseL31bsrmm_large_blockdim_kernel_extILj16ELj16ELj2EiiaaiiEEvb20rocsparse_direction_T3_S2_llNS_24const_host_device_scalarIT7_EEPKT2_PKS2_PKT4_S2_PKT5_llS5_PT6_ll16rocsparse_order_21rocsparse_index_base_b.has_indirect_call, 0
	.section	.AMDGPU.csdata,"",@progbits
; Kernel info:
; codeLenInByte = 1736
; TotalNumSgprs: 32
; NumVgprs: 26
; ScratchSize: 0
; MemoryBound: 0
; FloatMode: 240
; IeeeMode: 1
; LDSByteSize: 3072 bytes/workgroup (compile time only)
; SGPRBlocks: 0
; VGPRBlocks: 1
; NumSGPRsForWavesPerEU: 32
; NumVGPRsForWavesPerEU: 26
; NamedBarCnt: 0
; Occupancy: 16
; WaveLimiterHint : 1
; COMPUTE_PGM_RSRC2:SCRATCH_EN: 0
; COMPUTE_PGM_RSRC2:USER_SGPR: 2
; COMPUTE_PGM_RSRC2:TRAP_HANDLER: 0
; COMPUTE_PGM_RSRC2:TGID_X_EN: 1
; COMPUTE_PGM_RSRC2:TGID_Y_EN: 1
; COMPUTE_PGM_RSRC2:TGID_Z_EN: 0
; COMPUTE_PGM_RSRC2:TIDIG_COMP_CNT: 1
	.section	.text._ZN9rocsparseL31bsrmm_large_blockdim_kernel_extILj32ELj32ELj2EiiaaiiEEvb20rocsparse_direction_T3_S2_llNS_24const_host_device_scalarIT7_EEPKT2_PKS2_PKT4_S2_PKT5_llS5_PT6_ll16rocsparse_order_21rocsparse_index_base_b,"axG",@progbits,_ZN9rocsparseL31bsrmm_large_blockdim_kernel_extILj32ELj32ELj2EiiaaiiEEvb20rocsparse_direction_T3_S2_llNS_24const_host_device_scalarIT7_EEPKT2_PKS2_PKT4_S2_PKT5_llS5_PT6_ll16rocsparse_order_21rocsparse_index_base_b,comdat
	.globl	_ZN9rocsparseL31bsrmm_large_blockdim_kernel_extILj32ELj32ELj2EiiaaiiEEvb20rocsparse_direction_T3_S2_llNS_24const_host_device_scalarIT7_EEPKT2_PKS2_PKT4_S2_PKT5_llS5_PT6_ll16rocsparse_order_21rocsparse_index_base_b ; -- Begin function _ZN9rocsparseL31bsrmm_large_blockdim_kernel_extILj32ELj32ELj2EiiaaiiEEvb20rocsparse_direction_T3_S2_llNS_24const_host_device_scalarIT7_EEPKT2_PKS2_PKT4_S2_PKT5_llS5_PT6_ll16rocsparse_order_21rocsparse_index_base_b
	.p2align	8
	.type	_ZN9rocsparseL31bsrmm_large_blockdim_kernel_extILj32ELj32ELj2EiiaaiiEEvb20rocsparse_direction_T3_S2_llNS_24const_host_device_scalarIT7_EEPKT2_PKS2_PKT4_S2_PKT5_llS5_PT6_ll16rocsparse_order_21rocsparse_index_base_b,@function
_ZN9rocsparseL31bsrmm_large_blockdim_kernel_extILj32ELj32ELj2EiiaaiiEEvb20rocsparse_direction_T3_S2_llNS_24const_host_device_scalarIT7_EEPKT2_PKS2_PKT4_S2_PKT5_llS5_PT6_ll16rocsparse_order_21rocsparse_index_base_b: ; @_ZN9rocsparseL31bsrmm_large_blockdim_kernel_extILj32ELj32ELj2EiiaaiiEEvb20rocsparse_direction_T3_S2_llNS_24const_host_device_scalarIT7_EEPKT2_PKS2_PKT4_S2_PKT5_llS5_PT6_ll16rocsparse_order_21rocsparse_index_base_b
; %bb.0:
	s_clause 0x1
	s_load_b96 s[20:22], s[0:1], 0x80
	s_load_b64 s[4:5], s[0:1], 0x20
	s_mov_b32 s7, -1
                                        ; implicit-def: $sgpr24
	s_wait_kmcnt 0x0
	s_bitcmp1_b32 s22, 0
	s_cselect_b32 s2, -1, 0
	s_delay_alu instid0(SALU_CYCLE_1) | instskip(NEXT) | instid1(SALU_CYCLE_1)
	s_xor_b32 s6, s2, -1
	s_and_b32 vcc_lo, exec_lo, s6
	s_cbranch_vccnz .LBB63_4
; %bb.1:
	s_load_b64 s[2:3], s[0:1], 0x60
	s_and_not1_b32 vcc_lo, exec_lo, s7
	s_cbranch_vccz .LBB63_5
.LBB63_2:
	s_and_b32 vcc_lo, exec_lo, s6
	s_cbranch_vccz .LBB63_6
.LBB63_3:
	s_wait_kmcnt 0x0
	s_load_b32 s25, s[2:3], 0x0
	s_wait_xcnt 0x0
	s_cbranch_execz .LBB63_7
	s_branch .LBB63_8
.LBB63_4:
	s_load_b32 s24, s[4:5], 0x0
	s_load_b64 s[2:3], s[0:1], 0x60
	s_cbranch_execnz .LBB63_2
.LBB63_5:
	s_wait_kmcnt 0x0
	s_mov_b32 s24, s4
	s_and_b32 vcc_lo, exec_lo, s6
	s_cbranch_vccnz .LBB63_3
.LBB63_6:
	s_wait_kmcnt 0x0
                                        ; implicit-def: $sgpr25
.LBB63_7:
	s_wait_kmcnt 0x0
	s_mov_b32 s25, s2
.LBB63_8:
	s_cmp_eq_u32 s24, 0
	s_mov_b32 s22, 0
	s_cselect_b32 s2, -1, 0
	s_wait_kmcnt 0x0
	s_cmp_eq_u32 s25, 1
	s_cselect_b32 s3, -1, 0
	s_delay_alu instid0(SALU_CYCLE_1) | instskip(NEXT) | instid1(SALU_CYCLE_1)
	s_and_b32 s2, s2, s3
	s_and_b32 vcc_lo, exec_lo, s2
	s_cbranch_vccnz .LBB63_52
; %bb.9:
	s_clause 0x1
	s_load_b128 s[8:11], s[0:1], 0x0
	s_load_b64 s[2:3], s[0:1], 0x28
	s_bfe_u32 s4, ttmp6, 0x4000c
	s_and_b32 s5, ttmp6, 15
	s_add_co_i32 s4, s4, 1
	s_delay_alu instid0(SALU_CYCLE_1)
	s_mul_i32 s6, ttmp9, s4
	s_getreg_b32 s4, hwreg(HW_REG_IB_STS2, 6, 4)
	s_add_co_i32 s5, s5, s6
	s_cmp_eq_u32 s4, 0
	s_cselect_b32 s6, ttmp9, s5
	s_wait_kmcnt 0x0
	s_cmp_lt_i32 s6, s10
	s_cselect_b32 s26, -1, 0
	s_cmp_ge_i32 s6, s10
	s_cbranch_scc1 .LBB63_11
; %bb.10:
	s_ashr_i32 s7, s6, 31
	s_delay_alu instid0(SALU_CYCLE_1) | instskip(NEXT) | instid1(SALU_CYCLE_1)
	s_lshl_b64 s[12:13], s[6:7], 2
	s_add_nc_u64 s[12:13], s[2:3], s[12:13]
	s_load_b32 s5, s[12:13], 0x0
	s_wait_kmcnt 0x0
	s_sub_co_i32 s22, s5, s21
.LBB63_11:
	s_and_not1_b32 vcc_lo, exec_lo, s26
	s_mov_b32 s10, 0
	s_cbranch_vccnz .LBB63_13
; %bb.12:
	s_ashr_i32 s7, s6, 31
	s_delay_alu instid0(SALU_CYCLE_1) | instskip(NEXT) | instid1(SALU_CYCLE_1)
	s_lshl_b64 s[12:13], s[6:7], 2
	s_add_nc_u64 s[2:3], s[2:3], s[12:13]
	s_load_b32 s2, s[2:3], 0x4
	s_wait_kmcnt 0x0
	s_sub_co_i32 s10, s2, s21
.LBB63_13:
	s_bfe_u32 s2, ttmp6, 0x40010
	s_bfe_u32 s3, ttmp6, 0x40004
	s_add_co_i32 s2, s2, 1
	s_load_b32 s7, s[0:1], 0x40
	s_mul_i32 s2, ttmp7, s2
	v_bfe_u32 v2, v0, 10, 10
	s_add_co_i32 s3, s3, s2
	s_cmp_eq_u32 s4, 0
	v_and_b32_e32 v14, 0x3ff, v0
	s_cselect_b32 s2, ttmp7, s3
	s_cmp_ge_i32 s22, s10
	v_lshl_add_u32 v4, s2, 6, v2
	s_delay_alu instid0(VALU_DEP_1) | instskip(SKIP_1) | instid1(VALU_DEP_2)
	v_add_nc_u32_e32 v0, 32, v4
	v_cmp_gt_i32_e64 s2, s11, v4
	v_cmp_gt_i32_e64 s3, s11, v0
	s_wait_kmcnt 0x0
	v_cmp_gt_i32_e32 vcc_lo, s7, v14
	s_cbranch_scc1 .LBB63_31
; %bb.14:
	s_clause 0x1
	s_load_b128 s[12:15], s[0:1], 0x48
	s_load_b128 s[16:19], s[0:1], 0x30
	v_dual_ashrrev_i32 v5, 31, v4 :: v_dual_lshlrev_b32 v15, 7, v2
	v_dual_ashrrev_i32 v1, 31, v0 :: v_dual_lshlrev_b32 v12, 7, v14
	v_cmp_gt_i32_e64 s4, s7, v2
	v_mad_u32 v3, s7, v2, v14
	v_mad_u32 v10, s7, v14, v2
	v_lshl_or_b32 v11, v2, 2, 0x2000
	v_lshlrev_b32_e32 v13, 2, v14
	s_and_b32 s27, vcc_lo, s4
	s_bitcmp1_b32 s8, 0
	v_add_nc_u32_e32 v17, 0x2000, v12
	s_cselect_b32 s4, -1, 0
	s_cmp_eq_u32 s9, 0
	v_add_nc_u32_e32 v20, v11, v12
	s_cselect_b32 s5, -1, 0
	v_add_nc_u32_e32 v18, 0x1000, v15
	v_dual_cndmask_b32 v16, v3, v10, s5 :: v_dual_add_nc_u32 v19, v13, v15
	s_wait_kmcnt 0x0
	v_mul_u64_e32 v[6:7], s[14:15], v[4:5]
	v_mul_u64_e32 v[8:9], s[14:15], v[0:1]
	v_mov_b64_e32 v[2:3], 0
	s_mul_i32 s5, s7, s7
	s_branch .LBB63_17
.LBB63_15:                              ;   in Loop: Header=BB63_17 Depth=1
	s_or_b32 exec_lo, exec_lo, s9
.LBB63_16:                              ;   in Loop: Header=BB63_17 Depth=1
	s_delay_alu instid0(SALU_CYCLE_1) | instskip(SKIP_1) | instid1(SALU_CYCLE_1)
	s_or_b32 exec_lo, exec_lo, s8
	s_add_co_i32 s22, s22, 1
	s_cmp_ge_i32 s22, s10
	s_barrier_signal -1
	s_barrier_wait -1
	s_cbranch_scc1 .LBB63_32
.LBB63_17:                              ; =>This Loop Header: Depth=1
                                        ;     Child Loop BB63_27 Depth 2
                                        ;     Child Loop BB63_30 Depth 2
	s_and_saveexec_b32 s8, vcc_lo
	s_cbranch_execz .LBB63_22
; %bb.18:                               ;   in Loop: Header=BB63_17 Depth=1
	s_ashr_i32 s23, s22, 31
	s_delay_alu instid0(SALU_CYCLE_1) | instskip(NEXT) | instid1(SALU_CYCLE_1)
	s_lshl_b64 s[28:29], s[22:23], 2
	s_add_nc_u64 s[28:29], s[16:17], s[28:29]
	s_load_b32 s9, s[28:29], 0x0
	s_wait_kmcnt 0x0
	s_sub_co_i32 s9, s9, s21
	s_delay_alu instid0(SALU_CYCLE_1) | instskip(NEXT) | instid1(VALU_DEP_1)
	v_mad_u32 v12, s9, s7, v14
	v_mad_nc_u64_u32 v[10:11], s14, v12, s[12:13]
	v_ashrrev_i32_e32 v13, 31, v12
	s_delay_alu instid0(VALU_DEP_2) | instskip(NEXT) | instid1(VALU_DEP_1)
	v_mad_u32 v11, s15, v12, v11
	v_mad_u32 v11, s14, v13, v11
	v_add_nc_u64_e32 v[12:13], s[12:13], v[12:13]
	s_and_saveexec_b32 s9, s2
	s_cbranch_execz .LBB63_20
; %bb.19:                               ;   in Loop: Header=BB63_17 Depth=1
	s_delay_alu instid0(VALU_DEP_2) | instskip(NEXT) | instid1(VALU_DEP_2)
	v_add_nc_u64_e32 v[22:23], v[10:11], v[4:5]
	v_add_nc_u64_e32 v[24:25], v[12:13], v[6:7]
	s_delay_alu instid0(VALU_DEP_1)
	v_dual_cndmask_b32 v23, v23, v25, s4 :: v_dual_cndmask_b32 v22, v22, v24, s4
	global_load_i8 v21, v[22:23], off
	s_wait_loadcnt 0x0
	ds_store_b32 v19, v21
.LBB63_20:                              ;   in Loop: Header=BB63_17 Depth=1
	s_or_b32 exec_lo, exec_lo, s9
	s_delay_alu instid0(SALU_CYCLE_1)
	s_and_b32 exec_lo, exec_lo, s3
	s_cbranch_execz .LBB63_22
; %bb.21:                               ;   in Loop: Header=BB63_17 Depth=1
	s_delay_alu instid0(VALU_DEP_1) | instskip(NEXT) | instid1(VALU_DEP_3)
	v_add_nc_u64_e32 v[12:13], v[12:13], v[8:9]
	v_add_nc_u64_e32 v[10:11], v[10:11], v[0:1]
	s_delay_alu instid0(VALU_DEP_1)
	v_dual_cndmask_b32 v11, v11, v13, s4 :: v_dual_cndmask_b32 v10, v10, v12, s4
	global_load_i8 v10, v[10:11], off
	s_wait_loadcnt 0x0
	ds_store_b32 v19, v10 offset:4096
.LBB63_22:                              ;   in Loop: Header=BB63_17 Depth=1
	s_or_b32 exec_lo, exec_lo, s8
	s_and_saveexec_b32 s8, s27
	s_cbranch_execz .LBB63_24
; %bb.23:                               ;   in Loop: Header=BB63_17 Depth=1
	v_mad_u32 v10, s5, s22, v16
	global_load_i8 v10, v10, s[18:19]
	s_wait_loadcnt 0x0
	ds_store_b32 v20, v10
.LBB63_24:                              ;   in Loop: Header=BB63_17 Depth=1
	s_or_b32 exec_lo, exec_lo, s8
	s_wait_dscnt 0x0
	s_barrier_signal -1
	s_barrier_wait -1
	s_and_saveexec_b32 s8, vcc_lo
	s_cbranch_execz .LBB63_16
; %bb.25:                               ;   in Loop: Header=BB63_17 Depth=1
	s_and_saveexec_b32 s9, s2
	s_cbranch_execz .LBB63_28
; %bb.26:                               ;   in Loop: Header=BB63_17 Depth=1
	v_dual_mov_b32 v10, v17 :: v_dual_mov_b32 v11, v15
	s_mov_b32 s23, s7
.LBB63_27:                              ;   Parent Loop BB63_17 Depth=1
                                        ; =>  This Inner Loop Header: Depth=2
	ds_load_b32 v12, v10
	ds_load_b32 v13, v11
	v_dual_add_nc_u32 v11, 4, v11 :: v_dual_add_nc_u32 v10, 4, v10
	s_add_co_i32 s23, s23, -1
	s_delay_alu instid0(SALU_CYCLE_1)
	s_cmp_lg_u32 s23, 0
	s_wait_dscnt 0x0
	v_mad_u32 v2, v13, v12, v2
	s_cbranch_scc1 .LBB63_27
.LBB63_28:                              ;   in Loop: Header=BB63_17 Depth=1
	s_or_b32 exec_lo, exec_lo, s9
	s_and_saveexec_b32 s9, s3
	s_cbranch_execz .LBB63_15
; %bb.29:                               ;   in Loop: Header=BB63_17 Depth=1
	v_dual_mov_b32 v10, v17 :: v_dual_mov_b32 v11, v18
	s_mov_b32 s23, s7
.LBB63_30:                              ;   Parent Loop BB63_17 Depth=1
                                        ; =>  This Inner Loop Header: Depth=2
	ds_load_b32 v12, v10
	ds_load_b32 v13, v11
	v_dual_add_nc_u32 v11, 4, v11 :: v_dual_add_nc_u32 v10, 4, v10
	s_add_co_i32 s23, s23, -1
	s_delay_alu instid0(SALU_CYCLE_1)
	s_cmp_lg_u32 s23, 0
	s_wait_dscnt 0x0
	v_mad_u32 v3, v13, v12, v3
	s_cbranch_scc1 .LBB63_30
	s_branch .LBB63_15
.LBB63_31:
	v_mov_b64_e32 v[2:3], 0
.LBB63_32:
	s_load_b64 s[4:5], s[0:1], 0x68
	s_and_b32 s2, s26, vcc_lo
	s_delay_alu instid0(SALU_CYCLE_1)
	s_and_saveexec_b32 s3, s2
	s_cbranch_execz .LBB63_52
; %bb.33:
	s_load_b64 s[2:3], s[0:1], 0x70
	v_mad_u32 v6, s7, s6, v14
	s_cmp_lg_u32 s25, 0
	s_wait_xcnt 0x0
	s_mov_b32 s0, exec_lo
	s_cselect_b32 s6, -1, 0
	s_cmp_lg_u32 s20, 1
	s_cselect_b32 s1, -1, 0
	s_delay_alu instid0(VALU_DEP_1) | instskip(SKIP_1) | instid1(VALU_DEP_1)
	v_ashrrev_i32_e32 v7, 31, v6
	s_wait_kmcnt 0x0
	v_mul_u64_e32 v[8:9], s[2:3], v[6:7]
	v_lshl_add_u64 v[6:7], v[6:7], 2, s[4:5]
	s_delay_alu instid0(VALU_DEP_2)
	v_lshl_add_u64 v[8:9], v[8:9], 2, s[4:5]
	v_cmpx_gt_i32_e64 s11, v4
	s_cbranch_execz .LBB63_45
; %bb.34:
	v_ashrrev_i32_e32 v5, 31, v4
	s_and_b32 vcc_lo, exec_lo, s6
	s_cbranch_vccz .LBB63_40
; %bb.35:
	s_and_b32 vcc_lo, exec_lo, s1
	s_mov_b32 s4, -1
	s_cbranch_vccz .LBB63_37
; %bb.36:
	v_lshl_add_u64 v[10:11], v[4:5], 2, v[8:9]
	v_mul_lo_u32 v12, v2, s24
	s_mov_b32 s4, 0
	global_load_b32 v1, v[10:11], off
	s_wait_loadcnt 0x0
	v_mad_u32 v1, v1, s25, v12
	global_store_b32 v[10:11], v1, off
.LBB63_37:
	s_and_not1_b32 vcc_lo, exec_lo, s4
	s_cbranch_vccnz .LBB63_39
; %bb.38:
	s_wait_xcnt 0x0
	v_mul_u64_e32 v[10:11], s[2:3], v[4:5]
	v_mul_lo_u32 v12, v2, s24
	s_delay_alu instid0(VALU_DEP_2)
	v_lshl_add_u64 v[10:11], v[10:11], 2, v[6:7]
	global_load_b32 v1, v[10:11], off
	s_wait_loadcnt 0x0
	v_mad_u32 v1, v1, s25, v12
	global_store_b32 v[10:11], v1, off
.LBB63_39:
	s_cbranch_execz .LBB63_41
	s_branch .LBB63_45
.LBB63_40:
.LBB63_41:
	s_wait_xcnt 0x0
	v_mul_lo_u32 v1, v2, s24
	s_and_b32 vcc_lo, exec_lo, s1
	s_mov_b32 s4, -1
	s_cbranch_vccz .LBB63_43
; %bb.42:
	v_lshl_add_u64 v[10:11], v[4:5], 2, v[8:9]
	s_mov_b32 s4, 0
	global_store_b32 v[10:11], v1, off
.LBB63_43:
	s_and_not1_b32 vcc_lo, exec_lo, s4
	s_cbranch_vccnz .LBB63_45
; %bb.44:
	v_mul_u64_e32 v[4:5], s[2:3], v[4:5]
	s_delay_alu instid0(VALU_DEP_1)
	v_lshl_add_u64 v[4:5], v[4:5], 2, v[6:7]
	global_store_b32 v[4:5], v1, off
.LBB63_45:
	s_wait_xcnt 0x0
	s_or_b32 exec_lo, exec_lo, s0
	v_cmp_gt_i32_e32 vcc_lo, s11, v0
	s_and_b32 exec_lo, exec_lo, vcc_lo
	s_cbranch_execz .LBB63_52
; %bb.46:
	v_cndmask_b32_e64 v2, 0, 1, s1
	v_ashrrev_i32_e32 v1, 31, v0
	s_and_not1_b32 vcc_lo, exec_lo, s6
	s_delay_alu instid0(VALU_DEP_2)
	v_cmp_ne_u32_e64 s0, 1, v2
	s_cbranch_vccnz .LBB63_53
; %bb.47:
	s_and_b32 vcc_lo, exec_lo, s0
	s_mov_b32 s0, -1
	s_cbranch_vccnz .LBB63_49
; %bb.48:
	v_lshl_add_u64 v[4:5], v[0:1], 2, v[8:9]
	v_mul_lo_u32 v10, v3, s24
	s_mov_b32 s0, 0
	global_load_b32 v2, v[4:5], off
	s_wait_loadcnt 0x0
	v_mad_u32 v2, v2, s25, v10
	global_store_b32 v[4:5], v2, off
.LBB63_49:
	s_and_not1_b32 vcc_lo, exec_lo, s0
	s_cbranch_vccnz .LBB63_51
; %bb.50:
	s_wait_xcnt 0x0
	v_mul_u64_e32 v[4:5], s[2:3], v[0:1]
	v_mul_lo_u32 v10, v3, s24
	s_delay_alu instid0(VALU_DEP_2)
	v_lshl_add_u64 v[4:5], v[4:5], 2, v[6:7]
	global_load_b32 v2, v[4:5], off
	s_wait_loadcnt 0x0
	v_mad_u32 v2, v2, s25, v10
	global_store_b32 v[4:5], v2, off
.LBB63_51:
	s_cbranch_execz .LBB63_54
.LBB63_52:
	s_endpgm
.LBB63_53:
.LBB63_54:
	s_wait_xcnt 0x0
	v_mul_lo_u32 v2, v3, s24
	s_and_not1_b32 vcc_lo, exec_lo, s1
	s_mov_b32 s0, -1
	s_cbranch_vccnz .LBB63_56
; %bb.55:
	v_lshl_add_u64 v[4:5], v[0:1], 2, v[8:9]
	s_mov_b32 s0, 0
	global_store_b32 v[4:5], v2, off
.LBB63_56:
	s_and_not1_b32 vcc_lo, exec_lo, s0
	s_cbranch_vccnz .LBB63_52
; %bb.57:
	v_mul_u64_e32 v[0:1], s[2:3], v[0:1]
	s_delay_alu instid0(VALU_DEP_1)
	v_lshl_add_u64 v[0:1], v[0:1], 2, v[6:7]
	global_store_b32 v[0:1], v2, off
	s_endpgm
	.section	.rodata,"a",@progbits
	.p2align	6, 0x0
	.amdhsa_kernel _ZN9rocsparseL31bsrmm_large_blockdim_kernel_extILj32ELj32ELj2EiiaaiiEEvb20rocsparse_direction_T3_S2_llNS_24const_host_device_scalarIT7_EEPKT2_PKS2_PKT4_S2_PKT5_llS5_PT6_ll16rocsparse_order_21rocsparse_index_base_b
		.amdhsa_group_segment_fixed_size 12288
		.amdhsa_private_segment_fixed_size 0
		.amdhsa_kernarg_size 140
		.amdhsa_user_sgpr_count 2
		.amdhsa_user_sgpr_dispatch_ptr 0
		.amdhsa_user_sgpr_queue_ptr 0
		.amdhsa_user_sgpr_kernarg_segment_ptr 1
		.amdhsa_user_sgpr_dispatch_id 0
		.amdhsa_user_sgpr_kernarg_preload_length 0
		.amdhsa_user_sgpr_kernarg_preload_offset 0
		.amdhsa_user_sgpr_private_segment_size 0
		.amdhsa_wavefront_size32 1
		.amdhsa_uses_dynamic_stack 0
		.amdhsa_enable_private_segment 0
		.amdhsa_system_sgpr_workgroup_id_x 1
		.amdhsa_system_sgpr_workgroup_id_y 1
		.amdhsa_system_sgpr_workgroup_id_z 0
		.amdhsa_system_sgpr_workgroup_info 0
		.amdhsa_system_vgpr_workitem_id 1
		.amdhsa_next_free_vgpr 26
		.amdhsa_next_free_sgpr 30
		.amdhsa_named_barrier_count 0
		.amdhsa_reserve_vcc 1
		.amdhsa_float_round_mode_32 0
		.amdhsa_float_round_mode_16_64 0
		.amdhsa_float_denorm_mode_32 3
		.amdhsa_float_denorm_mode_16_64 3
		.amdhsa_fp16_overflow 0
		.amdhsa_memory_ordered 1
		.amdhsa_forward_progress 1
		.amdhsa_inst_pref_size 14
		.amdhsa_round_robin_scheduling 0
		.amdhsa_exception_fp_ieee_invalid_op 0
		.amdhsa_exception_fp_denorm_src 0
		.amdhsa_exception_fp_ieee_div_zero 0
		.amdhsa_exception_fp_ieee_overflow 0
		.amdhsa_exception_fp_ieee_underflow 0
		.amdhsa_exception_fp_ieee_inexact 0
		.amdhsa_exception_int_div_zero 0
	.end_amdhsa_kernel
	.section	.text._ZN9rocsparseL31bsrmm_large_blockdim_kernel_extILj32ELj32ELj2EiiaaiiEEvb20rocsparse_direction_T3_S2_llNS_24const_host_device_scalarIT7_EEPKT2_PKS2_PKT4_S2_PKT5_llS5_PT6_ll16rocsparse_order_21rocsparse_index_base_b,"axG",@progbits,_ZN9rocsparseL31bsrmm_large_blockdim_kernel_extILj32ELj32ELj2EiiaaiiEEvb20rocsparse_direction_T3_S2_llNS_24const_host_device_scalarIT7_EEPKT2_PKS2_PKT4_S2_PKT5_llS5_PT6_ll16rocsparse_order_21rocsparse_index_base_b,comdat
.Lfunc_end63:
	.size	_ZN9rocsparseL31bsrmm_large_blockdim_kernel_extILj32ELj32ELj2EiiaaiiEEvb20rocsparse_direction_T3_S2_llNS_24const_host_device_scalarIT7_EEPKT2_PKS2_PKT4_S2_PKT5_llS5_PT6_ll16rocsparse_order_21rocsparse_index_base_b, .Lfunc_end63-_ZN9rocsparseL31bsrmm_large_blockdim_kernel_extILj32ELj32ELj2EiiaaiiEEvb20rocsparse_direction_T3_S2_llNS_24const_host_device_scalarIT7_EEPKT2_PKS2_PKT4_S2_PKT5_llS5_PT6_ll16rocsparse_order_21rocsparse_index_base_b
                                        ; -- End function
	.set _ZN9rocsparseL31bsrmm_large_blockdim_kernel_extILj32ELj32ELj2EiiaaiiEEvb20rocsparse_direction_T3_S2_llNS_24const_host_device_scalarIT7_EEPKT2_PKS2_PKT4_S2_PKT5_llS5_PT6_ll16rocsparse_order_21rocsparse_index_base_b.num_vgpr, 26
	.set _ZN9rocsparseL31bsrmm_large_blockdim_kernel_extILj32ELj32ELj2EiiaaiiEEvb20rocsparse_direction_T3_S2_llNS_24const_host_device_scalarIT7_EEPKT2_PKS2_PKT4_S2_PKT5_llS5_PT6_ll16rocsparse_order_21rocsparse_index_base_b.num_agpr, 0
	.set _ZN9rocsparseL31bsrmm_large_blockdim_kernel_extILj32ELj32ELj2EiiaaiiEEvb20rocsparse_direction_T3_S2_llNS_24const_host_device_scalarIT7_EEPKT2_PKS2_PKT4_S2_PKT5_llS5_PT6_ll16rocsparse_order_21rocsparse_index_base_b.numbered_sgpr, 30
	.set _ZN9rocsparseL31bsrmm_large_blockdim_kernel_extILj32ELj32ELj2EiiaaiiEEvb20rocsparse_direction_T3_S2_llNS_24const_host_device_scalarIT7_EEPKT2_PKS2_PKT4_S2_PKT5_llS5_PT6_ll16rocsparse_order_21rocsparse_index_base_b.num_named_barrier, 0
	.set _ZN9rocsparseL31bsrmm_large_blockdim_kernel_extILj32ELj32ELj2EiiaaiiEEvb20rocsparse_direction_T3_S2_llNS_24const_host_device_scalarIT7_EEPKT2_PKS2_PKT4_S2_PKT5_llS5_PT6_ll16rocsparse_order_21rocsparse_index_base_b.private_seg_size, 0
	.set _ZN9rocsparseL31bsrmm_large_blockdim_kernel_extILj32ELj32ELj2EiiaaiiEEvb20rocsparse_direction_T3_S2_llNS_24const_host_device_scalarIT7_EEPKT2_PKS2_PKT4_S2_PKT5_llS5_PT6_ll16rocsparse_order_21rocsparse_index_base_b.uses_vcc, 1
	.set _ZN9rocsparseL31bsrmm_large_blockdim_kernel_extILj32ELj32ELj2EiiaaiiEEvb20rocsparse_direction_T3_S2_llNS_24const_host_device_scalarIT7_EEPKT2_PKS2_PKT4_S2_PKT5_llS5_PT6_ll16rocsparse_order_21rocsparse_index_base_b.uses_flat_scratch, 0
	.set _ZN9rocsparseL31bsrmm_large_blockdim_kernel_extILj32ELj32ELj2EiiaaiiEEvb20rocsparse_direction_T3_S2_llNS_24const_host_device_scalarIT7_EEPKT2_PKS2_PKT4_S2_PKT5_llS5_PT6_ll16rocsparse_order_21rocsparse_index_base_b.has_dyn_sized_stack, 0
	.set _ZN9rocsparseL31bsrmm_large_blockdim_kernel_extILj32ELj32ELj2EiiaaiiEEvb20rocsparse_direction_T3_S2_llNS_24const_host_device_scalarIT7_EEPKT2_PKS2_PKT4_S2_PKT5_llS5_PT6_ll16rocsparse_order_21rocsparse_index_base_b.has_recursion, 0
	.set _ZN9rocsparseL31bsrmm_large_blockdim_kernel_extILj32ELj32ELj2EiiaaiiEEvb20rocsparse_direction_T3_S2_llNS_24const_host_device_scalarIT7_EEPKT2_PKS2_PKT4_S2_PKT5_llS5_PT6_ll16rocsparse_order_21rocsparse_index_base_b.has_indirect_call, 0
	.section	.AMDGPU.csdata,"",@progbits
; Kernel info:
; codeLenInByte = 1736
; TotalNumSgprs: 32
; NumVgprs: 26
; ScratchSize: 0
; MemoryBound: 0
; FloatMode: 240
; IeeeMode: 1
; LDSByteSize: 12288 bytes/workgroup (compile time only)
; SGPRBlocks: 0
; VGPRBlocks: 1
; NumSGPRsForWavesPerEU: 32
; NumVGPRsForWavesPerEU: 26
; NamedBarCnt: 0
; Occupancy: 16
; WaveLimiterHint : 1
; COMPUTE_PGM_RSRC2:SCRATCH_EN: 0
; COMPUTE_PGM_RSRC2:USER_SGPR: 2
; COMPUTE_PGM_RSRC2:TRAP_HANDLER: 0
; COMPUTE_PGM_RSRC2:TGID_X_EN: 1
; COMPUTE_PGM_RSRC2:TGID_Y_EN: 1
; COMPUTE_PGM_RSRC2:TGID_Z_EN: 0
; COMPUTE_PGM_RSRC2:TIDIG_COMP_CNT: 1
	.section	.text._ZN9rocsparseL31bsrmm_large_blockdim_kernel_extILj8ELj8ELj2EliaaiiEEvb20rocsparse_direction_T3_S2_llNS_24const_host_device_scalarIT7_EEPKT2_PKS2_PKT4_S2_PKT5_llS5_PT6_ll16rocsparse_order_21rocsparse_index_base_b,"axG",@progbits,_ZN9rocsparseL31bsrmm_large_blockdim_kernel_extILj8ELj8ELj2EliaaiiEEvb20rocsparse_direction_T3_S2_llNS_24const_host_device_scalarIT7_EEPKT2_PKS2_PKT4_S2_PKT5_llS5_PT6_ll16rocsparse_order_21rocsparse_index_base_b,comdat
	.globl	_ZN9rocsparseL31bsrmm_large_blockdim_kernel_extILj8ELj8ELj2EliaaiiEEvb20rocsparse_direction_T3_S2_llNS_24const_host_device_scalarIT7_EEPKT2_PKS2_PKT4_S2_PKT5_llS5_PT6_ll16rocsparse_order_21rocsparse_index_base_b ; -- Begin function _ZN9rocsparseL31bsrmm_large_blockdim_kernel_extILj8ELj8ELj2EliaaiiEEvb20rocsparse_direction_T3_S2_llNS_24const_host_device_scalarIT7_EEPKT2_PKS2_PKT4_S2_PKT5_llS5_PT6_ll16rocsparse_order_21rocsparse_index_base_b
	.p2align	8
	.type	_ZN9rocsparseL31bsrmm_large_blockdim_kernel_extILj8ELj8ELj2EliaaiiEEvb20rocsparse_direction_T3_S2_llNS_24const_host_device_scalarIT7_EEPKT2_PKS2_PKT4_S2_PKT5_llS5_PT6_ll16rocsparse_order_21rocsparse_index_base_b,@function
_ZN9rocsparseL31bsrmm_large_blockdim_kernel_extILj8ELj8ELj2EliaaiiEEvb20rocsparse_direction_T3_S2_llNS_24const_host_device_scalarIT7_EEPKT2_PKS2_PKT4_S2_PKT5_llS5_PT6_ll16rocsparse_order_21rocsparse_index_base_b: ; @_ZN9rocsparseL31bsrmm_large_blockdim_kernel_extILj8ELj8ELj2EliaaiiEEvb20rocsparse_direction_T3_S2_llNS_24const_host_device_scalarIT7_EEPKT2_PKS2_PKT4_S2_PKT5_llS5_PT6_ll16rocsparse_order_21rocsparse_index_base_b
; %bb.0:
	s_clause 0x1
	s_load_b96 s[20:22], s[0:1], 0x80
	s_load_b64 s[4:5], s[0:1], 0x20
	s_mov_b32 s7, -1
                                        ; implicit-def: $sgpr26
	s_wait_kmcnt 0x0
	s_bitcmp1_b32 s22, 0
	s_cselect_b32 s2, -1, 0
	s_delay_alu instid0(SALU_CYCLE_1) | instskip(NEXT) | instid1(SALU_CYCLE_1)
	s_xor_b32 s6, s2, -1
	s_and_b32 vcc_lo, exec_lo, s6
	s_cbranch_vccnz .LBB64_4
; %bb.1:
	s_load_b64 s[2:3], s[0:1], 0x60
	s_and_not1_b32 vcc_lo, exec_lo, s7
	s_cbranch_vccz .LBB64_5
.LBB64_2:
	s_and_b32 vcc_lo, exec_lo, s6
	s_cbranch_vccz .LBB64_6
.LBB64_3:
	s_wait_kmcnt 0x0
	s_load_b32 s27, s[2:3], 0x0
	s_wait_xcnt 0x0
	s_cbranch_execz .LBB64_7
	s_branch .LBB64_8
.LBB64_4:
	s_load_b32 s26, s[4:5], 0x0
	s_load_b64 s[2:3], s[0:1], 0x60
	s_cbranch_execnz .LBB64_2
.LBB64_5:
	s_wait_kmcnt 0x0
	s_mov_b32 s26, s4
	s_and_b32 vcc_lo, exec_lo, s6
	s_cbranch_vccnz .LBB64_3
.LBB64_6:
	s_wait_kmcnt 0x0
                                        ; implicit-def: $sgpr27
.LBB64_7:
	s_wait_kmcnt 0x0
	s_mov_b32 s27, s2
.LBB64_8:
	s_cmp_eq_u32 s26, 0
	s_cselect_b32 s2, -1, 0
	s_wait_kmcnt 0x0
	s_cmp_eq_u32 s27, 1
	s_cselect_b32 s3, -1, 0
	s_delay_alu instid0(SALU_CYCLE_1) | instskip(NEXT) | instid1(SALU_CYCLE_1)
	s_and_b32 s2, s2, s3
	s_and_b32 vcc_lo, exec_lo, s2
	s_cbranch_vccnz .LBB64_52
; %bb.9:
	s_clause 0x1
	s_load_b128 s[8:11], s[0:1], 0x0
	s_load_b64 s[2:3], s[0:1], 0x28
	s_bfe_u32 s4, ttmp6, 0x4000c
	s_and_b32 s5, ttmp6, 15
	s_add_co_i32 s4, s4, 1
	s_mov_b64 s[22:23], 0
	s_mul_i32 s6, ttmp9, s4
	s_getreg_b32 s4, hwreg(HW_REG_IB_STS2, 6, 4)
	s_add_co_i32 s5, s5, s6
	s_cmp_eq_u32 s4, 0
	s_mov_b64 s[24:25], 0
	s_cselect_b32 s6, ttmp9, s5
	s_wait_kmcnt 0x0
	s_cmp_lt_i32 s6, s10
	s_cselect_b32 s28, -1, 0
	s_cmp_ge_i32 s6, s10
	s_cbranch_scc1 .LBB64_11
; %bb.10:
	s_ashr_i32 s7, s6, 31
	s_mov_b32 s15, 0
	s_lshl_b64 s[12:13], s[6:7], 3
	s_mov_b32 s14, s21
	s_add_nc_u64 s[12:13], s[2:3], s[12:13]
	s_load_b64 s[12:13], s[12:13], 0x0
	s_wait_kmcnt 0x0
	s_sub_nc_u64 s[24:25], s[12:13], s[14:15]
.LBB64_11:
	s_and_not1_b32 vcc_lo, exec_lo, s28
	s_cbranch_vccnz .LBB64_13
; %bb.12:
	s_ashr_i32 s7, s6, 31
	s_delay_alu instid0(SALU_CYCLE_1) | instskip(NEXT) | instid1(SALU_CYCLE_1)
	s_lshl_b64 s[12:13], s[6:7], 3
	s_add_nc_u64 s[2:3], s[2:3], s[12:13]
	s_mov_b32 s13, 0
	s_load_b64 s[2:3], s[2:3], 0x8
	s_mov_b32 s12, s21
	s_wait_kmcnt 0x0
	s_sub_nc_u64 s[22:23], s[2:3], s[12:13]
.LBB64_13:
	s_bfe_u32 s2, ttmp6, 0x40010
	s_load_b32 s7, s[0:1], 0x40
	s_add_co_i32 s2, s2, 1
	s_bfe_u32 s3, ttmp6, 0x40004
	s_mul_i32 s2, ttmp7, s2
	v_bfe_u32 v4, v0, 10, 10
	s_add_co_i32 s3, s3, s2
	s_cmp_eq_u32 s4, 0
	v_and_b32_e32 v6, 0x3ff, v0
	s_cselect_b32 s2, ttmp7, s3
	s_delay_alu instid0(SALU_CYCLE_1) | instskip(SKIP_1) | instid1(VALU_DEP_2)
	v_lshl_add_u32 v2, s2, 4, v4
	v_cmp_ge_i64_e64 s2, s[24:25], s[22:23]
	v_add_nc_u32_e32 v0, 8, v2
	v_cmp_gt_i32_e64 s3, s11, v2
	s_and_b32 vcc_lo, exec_lo, s2
	s_wait_kmcnt 0x0
	v_cmp_gt_i32_e64 s2, s7, v6
	v_cmp_gt_i32_e64 s4, s11, v0
	s_cbranch_vccnz .LBB64_31
; %bb.14:
	s_clause 0x1
	s_load_b128 s[12:15], s[0:1], 0x30
	s_load_b128 s[16:19], s[0:1], 0x48
	v_mul_lo_u32 v12, s7, v4
	v_dual_mov_b32 v13, 0 :: v_dual_ashrrev_i32 v3, 31, v2
	v_dual_ashrrev_i32 v1, 31, v0 :: v_dual_lshlrev_b32 v20, 2, v6
	v_cmp_gt_i32_e32 vcc_lo, s7, v4
	s_delay_alu instid0(VALU_DEP_3)
	v_dual_mov_b32 v7, v13 :: v_dual_mov_b32 v5, v13
	v_lshl_add_u32 v21, v4, 2, 0x200
	v_dual_lshlrev_b32 v18, 5, v4 :: v_dual_lshlrev_b32 v22, 5, v6
	s_and_b32 s10, s2, vcc_lo
	s_bitcmp1_b32 s8, 0
	s_mul_i32 s8, s7, s7
	s_cselect_b32 s5, -1, 0
	s_cmp_eq_u32 s9, 0
	v_add_nc_u32_e32 v19, 0x100, v18
	s_cselect_b32 vcc_lo, -1, 0
	s_wait_kmcnt 0x0
	v_add_nc_u64_e32 v[14:15], s[14:15], v[12:13]
	v_mul_lo_u32 v12, s7, v6
	v_mul_u64_e32 v[8:9], s[18:19], v[2:3]
	v_mul_u64_e32 v[10:11], s[18:19], v[0:1]
	v_add_nc_u32_e32 v21, v21, v22
	v_add_nc_u32_e32 v20, v20, v18
	v_add_nc_u64_e32 v[16:17], s[14:15], v[12:13]
	v_add_nc_u64_e32 v[12:13], v[14:15], v[6:7]
	s_delay_alu instid0(VALU_DEP_2) | instskip(NEXT) | instid1(VALU_DEP_1)
	v_add_nc_u64_e32 v[4:5], v[16:17], v[4:5]
	v_dual_cndmask_b32 v12, v12, v4 :: v_dual_add_nc_u32 v7, 0x200, v22
	s_delay_alu instid0(VALU_DEP_2)
	v_cndmask_b32_e32 v13, v13, v5, vcc_lo
	v_mov_b64_e32 v[4:5], 0
	s_branch .LBB64_17
.LBB64_15:                              ;   in Loop: Header=BB64_17 Depth=1
	s_or_b32 exec_lo, exec_lo, s14
.LBB64_16:                              ;   in Loop: Header=BB64_17 Depth=1
	s_delay_alu instid0(SALU_CYCLE_1) | instskip(SKIP_1) | instid1(SALU_CYCLE_1)
	s_or_b32 exec_lo, exec_lo, s9
	s_add_nc_u64 s[24:25], s[24:25], 1
	v_cmp_ge_i64_e64 s9, s[24:25], s[22:23]
	s_barrier_signal -1
	s_barrier_wait -1
	s_and_b32 vcc_lo, exec_lo, s9
	s_cbranch_vccnz .LBB64_32
.LBB64_17:                              ; =>This Loop Header: Depth=1
                                        ;     Child Loop BB64_27 Depth 2
                                        ;     Child Loop BB64_30 Depth 2
	s_and_saveexec_b32 s9, s2
	s_cbranch_execz .LBB64_22
; %bb.18:                               ;   in Loop: Header=BB64_17 Depth=1
	s_lshl_b64 s[14:15], s[24:25], 2
	s_delay_alu instid0(SALU_CYCLE_1) | instskip(SKIP_3) | instid1(SALU_CYCLE_1)
	s_add_nc_u64 s[14:15], s[12:13], s[14:15]
	s_load_b32 s14, s[14:15], 0x0
	s_wait_kmcnt 0x0
	s_sub_co_i32 s14, s14, s21
	v_mad_u32 v16, s14, s7, v6
	s_delay_alu instid0(VALU_DEP_1) | instskip(SKIP_1) | instid1(VALU_DEP_2)
	v_mad_nc_u64_u32 v[14:15], s18, v16, s[16:17]
	v_ashrrev_i32_e32 v17, 31, v16
	v_mad_u32 v15, s19, v16, v15
	s_delay_alu instid0(VALU_DEP_1)
	v_mad_u32 v15, s18, v17, v15
	v_add_nc_u64_e32 v[16:17], s[16:17], v[16:17]
	s_and_saveexec_b32 s14, s3
	s_cbranch_execz .LBB64_20
; %bb.19:                               ;   in Loop: Header=BB64_17 Depth=1
	s_delay_alu instid0(VALU_DEP_2) | instskip(NEXT) | instid1(VALU_DEP_2)
	v_add_nc_u64_e32 v[22:23], v[14:15], v[2:3]
	v_add_nc_u64_e32 v[24:25], v[16:17], v[8:9]
	s_delay_alu instid0(VALU_DEP_1)
	v_dual_cndmask_b32 v23, v23, v25, s5 :: v_dual_cndmask_b32 v22, v22, v24, s5
	global_load_i8 v22, v[22:23], off
	s_wait_loadcnt 0x0
	ds_store_b32 v20, v22
.LBB64_20:                              ;   in Loop: Header=BB64_17 Depth=1
	s_or_b32 exec_lo, exec_lo, s14
	s_delay_alu instid0(SALU_CYCLE_1)
	s_and_b32 exec_lo, exec_lo, s4
	s_cbranch_execz .LBB64_22
; %bb.21:                               ;   in Loop: Header=BB64_17 Depth=1
	s_delay_alu instid0(VALU_DEP_1) | instskip(NEXT) | instid1(VALU_DEP_3)
	v_add_nc_u64_e32 v[16:17], v[16:17], v[10:11]
	v_add_nc_u64_e32 v[14:15], v[14:15], v[0:1]
	s_delay_alu instid0(VALU_DEP_1)
	v_dual_cndmask_b32 v15, v15, v17, s5 :: v_dual_cndmask_b32 v14, v14, v16, s5
	global_load_i8 v14, v[14:15], off
	s_wait_loadcnt 0x0
	ds_store_b32 v20, v14 offset:256
.LBB64_22:                              ;   in Loop: Header=BB64_17 Depth=1
	s_or_b32 exec_lo, exec_lo, s9
	s_and_saveexec_b32 s9, s10
	s_cbranch_execz .LBB64_24
; %bb.23:                               ;   in Loop: Header=BB64_17 Depth=1
	v_mad_nc_u64_u32 v[14:15], s24, s8, v[12:13]
	s_delay_alu instid0(VALU_DEP_1)
	v_mad_u32 v15, s25, s8, v15
	global_load_i8 v14, v[14:15], off
	s_wait_loadcnt 0x0
	ds_store_b32 v21, v14
.LBB64_24:                              ;   in Loop: Header=BB64_17 Depth=1
	s_or_b32 exec_lo, exec_lo, s9
	s_wait_dscnt 0x0
	s_barrier_signal -1
	s_barrier_wait -1
	s_and_saveexec_b32 s9, s2
	s_cbranch_execz .LBB64_16
; %bb.25:                               ;   in Loop: Header=BB64_17 Depth=1
	s_and_saveexec_b32 s14, s3
	s_cbranch_execz .LBB64_28
; %bb.26:                               ;   in Loop: Header=BB64_17 Depth=1
	v_dual_mov_b32 v14, v7 :: v_dual_mov_b32 v15, v18
	s_mov_b32 s15, s7
.LBB64_27:                              ;   Parent Loop BB64_17 Depth=1
                                        ; =>  This Inner Loop Header: Depth=2
	ds_load_b32 v16, v14
	ds_load_b32 v17, v15
	v_dual_add_nc_u32 v15, 4, v15 :: v_dual_add_nc_u32 v14, 4, v14
	s_add_co_i32 s15, s15, -1
	s_delay_alu instid0(SALU_CYCLE_1)
	s_cmp_lg_u32 s15, 0
	s_wait_dscnt 0x0
	v_mad_u32 v4, v17, v16, v4
	s_cbranch_scc1 .LBB64_27
.LBB64_28:                              ;   in Loop: Header=BB64_17 Depth=1
	s_or_b32 exec_lo, exec_lo, s14
	s_and_saveexec_b32 s14, s4
	s_cbranch_execz .LBB64_15
; %bb.29:                               ;   in Loop: Header=BB64_17 Depth=1
	v_dual_mov_b32 v14, v7 :: v_dual_mov_b32 v15, v19
	s_mov_b32 s15, s7
.LBB64_30:                              ;   Parent Loop BB64_17 Depth=1
                                        ; =>  This Inner Loop Header: Depth=2
	ds_load_b32 v16, v14
	ds_load_b32 v17, v15
	v_dual_add_nc_u32 v15, 4, v15 :: v_dual_add_nc_u32 v14, 4, v14
	s_add_co_i32 s15, s15, -1
	s_delay_alu instid0(SALU_CYCLE_1)
	s_cmp_lg_u32 s15, 0
	s_wait_dscnt 0x0
	v_mad_u32 v5, v17, v16, v5
	s_cbranch_scc1 .LBB64_30
	s_branch .LBB64_15
.LBB64_31:
	v_mov_b64_e32 v[4:5], 0
.LBB64_32:
	s_load_b64 s[4:5], s[0:1], 0x68
	s_and_b32 s2, s28, s2
	s_delay_alu instid0(SALU_CYCLE_1)
	s_and_saveexec_b32 s3, s2
	s_cbranch_execz .LBB64_52
; %bb.33:
	s_load_b64 s[2:3], s[0:1], 0x70
	v_mad_u32 v6, s7, s6, v6
	s_cmp_lg_u32 s27, 0
	s_wait_xcnt 0x0
	s_mov_b32 s0, exec_lo
	s_cselect_b32 s6, -1, 0
	s_cmp_lg_u32 s20, 1
	s_cselect_b32 s1, -1, 0
	s_delay_alu instid0(VALU_DEP_1) | instskip(SKIP_1) | instid1(VALU_DEP_1)
	v_ashrrev_i32_e32 v7, 31, v6
	s_wait_kmcnt 0x0
	v_mul_u64_e32 v[8:9], s[2:3], v[6:7]
	v_lshl_add_u64 v[6:7], v[6:7], 2, s[4:5]
	s_delay_alu instid0(VALU_DEP_2)
	v_lshl_add_u64 v[8:9], v[8:9], 2, s[4:5]
	v_cmpx_gt_i32_e64 s11, v2
	s_cbranch_execz .LBB64_45
; %bb.34:
	v_ashrrev_i32_e32 v3, 31, v2
	s_and_b32 vcc_lo, exec_lo, s6
	s_cbranch_vccz .LBB64_40
; %bb.35:
	s_and_b32 vcc_lo, exec_lo, s1
	s_mov_b32 s4, -1
	s_cbranch_vccz .LBB64_37
; %bb.36:
	v_lshl_add_u64 v[10:11], v[2:3], 2, v[8:9]
	v_mul_lo_u32 v12, v4, s26
	s_mov_b32 s4, 0
	global_load_b32 v1, v[10:11], off
	s_wait_loadcnt 0x0
	v_mad_u32 v1, v1, s27, v12
	global_store_b32 v[10:11], v1, off
.LBB64_37:
	s_and_not1_b32 vcc_lo, exec_lo, s4
	s_cbranch_vccnz .LBB64_39
; %bb.38:
	s_wait_xcnt 0x0
	v_mul_u64_e32 v[10:11], s[2:3], v[2:3]
	v_mul_lo_u32 v12, v4, s26
	s_delay_alu instid0(VALU_DEP_2)
	v_lshl_add_u64 v[10:11], v[10:11], 2, v[6:7]
	global_load_b32 v1, v[10:11], off
	s_wait_loadcnt 0x0
	v_mad_u32 v1, v1, s27, v12
	global_store_b32 v[10:11], v1, off
.LBB64_39:
	s_cbranch_execz .LBB64_41
	s_branch .LBB64_45
.LBB64_40:
.LBB64_41:
	s_wait_xcnt 0x0
	v_mul_lo_u32 v1, v4, s26
	s_and_b32 vcc_lo, exec_lo, s1
	s_mov_b32 s4, -1
	s_cbranch_vccz .LBB64_43
; %bb.42:
	v_lshl_add_u64 v[10:11], v[2:3], 2, v[8:9]
	s_mov_b32 s4, 0
	global_store_b32 v[10:11], v1, off
.LBB64_43:
	s_and_not1_b32 vcc_lo, exec_lo, s4
	s_cbranch_vccnz .LBB64_45
; %bb.44:
	v_mul_u64_e32 v[2:3], s[2:3], v[2:3]
	s_delay_alu instid0(VALU_DEP_1)
	v_lshl_add_u64 v[2:3], v[2:3], 2, v[6:7]
	global_store_b32 v[2:3], v1, off
.LBB64_45:
	s_wait_xcnt 0x0
	s_or_b32 exec_lo, exec_lo, s0
	v_cmp_gt_i32_e32 vcc_lo, s11, v0
	s_and_b32 exec_lo, exec_lo, vcc_lo
	s_cbranch_execz .LBB64_52
; %bb.46:
	v_cndmask_b32_e64 v2, 0, 1, s1
	v_ashrrev_i32_e32 v1, 31, v0
	s_and_not1_b32 vcc_lo, exec_lo, s6
	s_delay_alu instid0(VALU_DEP_2)
	v_cmp_ne_u32_e64 s0, 1, v2
	s_cbranch_vccnz .LBB64_53
; %bb.47:
	s_and_b32 vcc_lo, exec_lo, s0
	s_mov_b32 s0, -1
	s_cbranch_vccnz .LBB64_49
; %bb.48:
	v_lshl_add_u64 v[2:3], v[0:1], 2, v[8:9]
	v_mul_lo_u32 v10, v5, s26
	s_mov_b32 s0, 0
	global_load_b32 v4, v[2:3], off
	s_wait_loadcnt 0x0
	v_mad_u32 v4, v4, s27, v10
	global_store_b32 v[2:3], v4, off
.LBB64_49:
	s_and_not1_b32 vcc_lo, exec_lo, s0
	s_cbranch_vccnz .LBB64_51
; %bb.50:
	s_wait_xcnt 0x0
	v_mul_u64_e32 v[2:3], s[2:3], v[0:1]
	v_mul_lo_u32 v10, v5, s26
	s_delay_alu instid0(VALU_DEP_2)
	v_lshl_add_u64 v[2:3], v[2:3], 2, v[6:7]
	global_load_b32 v4, v[2:3], off
	s_wait_loadcnt 0x0
	v_mad_u32 v4, v4, s27, v10
	global_store_b32 v[2:3], v4, off
.LBB64_51:
	s_cbranch_execz .LBB64_54
.LBB64_52:
	s_endpgm
.LBB64_53:
.LBB64_54:
	s_wait_xcnt 0x0
	v_mul_lo_u32 v2, v5, s26
	s_and_not1_b32 vcc_lo, exec_lo, s1
	s_mov_b32 s0, -1
	s_cbranch_vccnz .LBB64_56
; %bb.55:
	v_lshl_add_u64 v[4:5], v[0:1], 2, v[8:9]
	s_mov_b32 s0, 0
	global_store_b32 v[4:5], v2, off
.LBB64_56:
	s_and_not1_b32 vcc_lo, exec_lo, s0
	s_cbranch_vccnz .LBB64_52
; %bb.57:
	v_mul_u64_e32 v[0:1], s[2:3], v[0:1]
	s_delay_alu instid0(VALU_DEP_1)
	v_lshl_add_u64 v[0:1], v[0:1], 2, v[6:7]
	global_store_b32 v[0:1], v2, off
	s_endpgm
	.section	.rodata,"a",@progbits
	.p2align	6, 0x0
	.amdhsa_kernel _ZN9rocsparseL31bsrmm_large_blockdim_kernel_extILj8ELj8ELj2EliaaiiEEvb20rocsparse_direction_T3_S2_llNS_24const_host_device_scalarIT7_EEPKT2_PKS2_PKT4_S2_PKT5_llS5_PT6_ll16rocsparse_order_21rocsparse_index_base_b
		.amdhsa_group_segment_fixed_size 768
		.amdhsa_private_segment_fixed_size 0
		.amdhsa_kernarg_size 140
		.amdhsa_user_sgpr_count 2
		.amdhsa_user_sgpr_dispatch_ptr 0
		.amdhsa_user_sgpr_queue_ptr 0
		.amdhsa_user_sgpr_kernarg_segment_ptr 1
		.amdhsa_user_sgpr_dispatch_id 0
		.amdhsa_user_sgpr_kernarg_preload_length 0
		.amdhsa_user_sgpr_kernarg_preload_offset 0
		.amdhsa_user_sgpr_private_segment_size 0
		.amdhsa_wavefront_size32 1
		.amdhsa_uses_dynamic_stack 0
		.amdhsa_enable_private_segment 0
		.amdhsa_system_sgpr_workgroup_id_x 1
		.amdhsa_system_sgpr_workgroup_id_y 1
		.amdhsa_system_sgpr_workgroup_id_z 0
		.amdhsa_system_sgpr_workgroup_info 0
		.amdhsa_system_vgpr_workitem_id 1
		.amdhsa_next_free_vgpr 26
		.amdhsa_next_free_sgpr 29
		.amdhsa_named_barrier_count 0
		.amdhsa_reserve_vcc 1
		.amdhsa_float_round_mode_32 0
		.amdhsa_float_round_mode_16_64 0
		.amdhsa_float_denorm_mode_32 3
		.amdhsa_float_denorm_mode_16_64 3
		.amdhsa_fp16_overflow 0
		.amdhsa_memory_ordered 1
		.amdhsa_forward_progress 1
		.amdhsa_inst_pref_size 15
		.amdhsa_round_robin_scheduling 0
		.amdhsa_exception_fp_ieee_invalid_op 0
		.amdhsa_exception_fp_denorm_src 0
		.amdhsa_exception_fp_ieee_div_zero 0
		.amdhsa_exception_fp_ieee_overflow 0
		.amdhsa_exception_fp_ieee_underflow 0
		.amdhsa_exception_fp_ieee_inexact 0
		.amdhsa_exception_int_div_zero 0
	.end_amdhsa_kernel
	.section	.text._ZN9rocsparseL31bsrmm_large_blockdim_kernel_extILj8ELj8ELj2EliaaiiEEvb20rocsparse_direction_T3_S2_llNS_24const_host_device_scalarIT7_EEPKT2_PKS2_PKT4_S2_PKT5_llS5_PT6_ll16rocsparse_order_21rocsparse_index_base_b,"axG",@progbits,_ZN9rocsparseL31bsrmm_large_blockdim_kernel_extILj8ELj8ELj2EliaaiiEEvb20rocsparse_direction_T3_S2_llNS_24const_host_device_scalarIT7_EEPKT2_PKS2_PKT4_S2_PKT5_llS5_PT6_ll16rocsparse_order_21rocsparse_index_base_b,comdat
.Lfunc_end64:
	.size	_ZN9rocsparseL31bsrmm_large_blockdim_kernel_extILj8ELj8ELj2EliaaiiEEvb20rocsparse_direction_T3_S2_llNS_24const_host_device_scalarIT7_EEPKT2_PKS2_PKT4_S2_PKT5_llS5_PT6_ll16rocsparse_order_21rocsparse_index_base_b, .Lfunc_end64-_ZN9rocsparseL31bsrmm_large_blockdim_kernel_extILj8ELj8ELj2EliaaiiEEvb20rocsparse_direction_T3_S2_llNS_24const_host_device_scalarIT7_EEPKT2_PKS2_PKT4_S2_PKT5_llS5_PT6_ll16rocsparse_order_21rocsparse_index_base_b
                                        ; -- End function
	.set _ZN9rocsparseL31bsrmm_large_blockdim_kernel_extILj8ELj8ELj2EliaaiiEEvb20rocsparse_direction_T3_S2_llNS_24const_host_device_scalarIT7_EEPKT2_PKS2_PKT4_S2_PKT5_llS5_PT6_ll16rocsparse_order_21rocsparse_index_base_b.num_vgpr, 26
	.set _ZN9rocsparseL31bsrmm_large_blockdim_kernel_extILj8ELj8ELj2EliaaiiEEvb20rocsparse_direction_T3_S2_llNS_24const_host_device_scalarIT7_EEPKT2_PKS2_PKT4_S2_PKT5_llS5_PT6_ll16rocsparse_order_21rocsparse_index_base_b.num_agpr, 0
	.set _ZN9rocsparseL31bsrmm_large_blockdim_kernel_extILj8ELj8ELj2EliaaiiEEvb20rocsparse_direction_T3_S2_llNS_24const_host_device_scalarIT7_EEPKT2_PKS2_PKT4_S2_PKT5_llS5_PT6_ll16rocsparse_order_21rocsparse_index_base_b.numbered_sgpr, 29
	.set _ZN9rocsparseL31bsrmm_large_blockdim_kernel_extILj8ELj8ELj2EliaaiiEEvb20rocsparse_direction_T3_S2_llNS_24const_host_device_scalarIT7_EEPKT2_PKS2_PKT4_S2_PKT5_llS5_PT6_ll16rocsparse_order_21rocsparse_index_base_b.num_named_barrier, 0
	.set _ZN9rocsparseL31bsrmm_large_blockdim_kernel_extILj8ELj8ELj2EliaaiiEEvb20rocsparse_direction_T3_S2_llNS_24const_host_device_scalarIT7_EEPKT2_PKS2_PKT4_S2_PKT5_llS5_PT6_ll16rocsparse_order_21rocsparse_index_base_b.private_seg_size, 0
	.set _ZN9rocsparseL31bsrmm_large_blockdim_kernel_extILj8ELj8ELj2EliaaiiEEvb20rocsparse_direction_T3_S2_llNS_24const_host_device_scalarIT7_EEPKT2_PKS2_PKT4_S2_PKT5_llS5_PT6_ll16rocsparse_order_21rocsparse_index_base_b.uses_vcc, 1
	.set _ZN9rocsparseL31bsrmm_large_blockdim_kernel_extILj8ELj8ELj2EliaaiiEEvb20rocsparse_direction_T3_S2_llNS_24const_host_device_scalarIT7_EEPKT2_PKS2_PKT4_S2_PKT5_llS5_PT6_ll16rocsparse_order_21rocsparse_index_base_b.uses_flat_scratch, 0
	.set _ZN9rocsparseL31bsrmm_large_blockdim_kernel_extILj8ELj8ELj2EliaaiiEEvb20rocsparse_direction_T3_S2_llNS_24const_host_device_scalarIT7_EEPKT2_PKS2_PKT4_S2_PKT5_llS5_PT6_ll16rocsparse_order_21rocsparse_index_base_b.has_dyn_sized_stack, 0
	.set _ZN9rocsparseL31bsrmm_large_blockdim_kernel_extILj8ELj8ELj2EliaaiiEEvb20rocsparse_direction_T3_S2_llNS_24const_host_device_scalarIT7_EEPKT2_PKS2_PKT4_S2_PKT5_llS5_PT6_ll16rocsparse_order_21rocsparse_index_base_b.has_recursion, 0
	.set _ZN9rocsparseL31bsrmm_large_blockdim_kernel_extILj8ELj8ELj2EliaaiiEEvb20rocsparse_direction_T3_S2_llNS_24const_host_device_scalarIT7_EEPKT2_PKS2_PKT4_S2_PKT5_llS5_PT6_ll16rocsparse_order_21rocsparse_index_base_b.has_indirect_call, 0
	.section	.AMDGPU.csdata,"",@progbits
; Kernel info:
; codeLenInByte = 1816
; TotalNumSgprs: 31
; NumVgprs: 26
; ScratchSize: 0
; MemoryBound: 0
; FloatMode: 240
; IeeeMode: 1
; LDSByteSize: 768 bytes/workgroup (compile time only)
; SGPRBlocks: 0
; VGPRBlocks: 1
; NumSGPRsForWavesPerEU: 31
; NumVGPRsForWavesPerEU: 26
; NamedBarCnt: 0
; Occupancy: 16
; WaveLimiterHint : 1
; COMPUTE_PGM_RSRC2:SCRATCH_EN: 0
; COMPUTE_PGM_RSRC2:USER_SGPR: 2
; COMPUTE_PGM_RSRC2:TRAP_HANDLER: 0
; COMPUTE_PGM_RSRC2:TGID_X_EN: 1
; COMPUTE_PGM_RSRC2:TGID_Y_EN: 1
; COMPUTE_PGM_RSRC2:TGID_Z_EN: 0
; COMPUTE_PGM_RSRC2:TIDIG_COMP_CNT: 1
	.section	.text._ZN9rocsparseL31bsrmm_large_blockdim_kernel_extILj4ELj16ELj2EliaaiiEEvb20rocsparse_direction_T3_S2_llNS_24const_host_device_scalarIT7_EEPKT2_PKS2_PKT4_S2_PKT5_llS5_PT6_ll16rocsparse_order_21rocsparse_index_base_b,"axG",@progbits,_ZN9rocsparseL31bsrmm_large_blockdim_kernel_extILj4ELj16ELj2EliaaiiEEvb20rocsparse_direction_T3_S2_llNS_24const_host_device_scalarIT7_EEPKT2_PKS2_PKT4_S2_PKT5_llS5_PT6_ll16rocsparse_order_21rocsparse_index_base_b,comdat
	.globl	_ZN9rocsparseL31bsrmm_large_blockdim_kernel_extILj4ELj16ELj2EliaaiiEEvb20rocsparse_direction_T3_S2_llNS_24const_host_device_scalarIT7_EEPKT2_PKS2_PKT4_S2_PKT5_llS5_PT6_ll16rocsparse_order_21rocsparse_index_base_b ; -- Begin function _ZN9rocsparseL31bsrmm_large_blockdim_kernel_extILj4ELj16ELj2EliaaiiEEvb20rocsparse_direction_T3_S2_llNS_24const_host_device_scalarIT7_EEPKT2_PKS2_PKT4_S2_PKT5_llS5_PT6_ll16rocsparse_order_21rocsparse_index_base_b
	.p2align	8
	.type	_ZN9rocsparseL31bsrmm_large_blockdim_kernel_extILj4ELj16ELj2EliaaiiEEvb20rocsparse_direction_T3_S2_llNS_24const_host_device_scalarIT7_EEPKT2_PKS2_PKT4_S2_PKT5_llS5_PT6_ll16rocsparse_order_21rocsparse_index_base_b,@function
_ZN9rocsparseL31bsrmm_large_blockdim_kernel_extILj4ELj16ELj2EliaaiiEEvb20rocsparse_direction_T3_S2_llNS_24const_host_device_scalarIT7_EEPKT2_PKS2_PKT4_S2_PKT5_llS5_PT6_ll16rocsparse_order_21rocsparse_index_base_b: ; @_ZN9rocsparseL31bsrmm_large_blockdim_kernel_extILj4ELj16ELj2EliaaiiEEvb20rocsparse_direction_T3_S2_llNS_24const_host_device_scalarIT7_EEPKT2_PKS2_PKT4_S2_PKT5_llS5_PT6_ll16rocsparse_order_21rocsparse_index_base_b
; %bb.0:
	s_clause 0x1
	s_load_b96 s[20:22], s[0:1], 0x80
	s_load_b64 s[4:5], s[0:1], 0x20
	s_mov_b32 s7, -1
                                        ; implicit-def: $sgpr26
	s_wait_kmcnt 0x0
	s_bitcmp1_b32 s22, 0
	s_cselect_b32 s2, -1, 0
	s_delay_alu instid0(SALU_CYCLE_1) | instskip(NEXT) | instid1(SALU_CYCLE_1)
	s_xor_b32 s6, s2, -1
	s_and_b32 vcc_lo, exec_lo, s6
	s_cbranch_vccnz .LBB65_4
; %bb.1:
	s_load_b64 s[2:3], s[0:1], 0x60
	s_and_not1_b32 vcc_lo, exec_lo, s7
	s_cbranch_vccz .LBB65_5
.LBB65_2:
	s_and_b32 vcc_lo, exec_lo, s6
	s_cbranch_vccz .LBB65_6
.LBB65_3:
	s_wait_kmcnt 0x0
	s_load_b32 s27, s[2:3], 0x0
	s_wait_xcnt 0x0
	s_cbranch_execz .LBB65_7
	s_branch .LBB65_8
.LBB65_4:
	s_load_b32 s26, s[4:5], 0x0
	s_load_b64 s[2:3], s[0:1], 0x60
	s_cbranch_execnz .LBB65_2
.LBB65_5:
	s_wait_kmcnt 0x0
	s_mov_b32 s26, s4
	s_and_b32 vcc_lo, exec_lo, s6
	s_cbranch_vccnz .LBB65_3
.LBB65_6:
	s_wait_kmcnt 0x0
                                        ; implicit-def: $sgpr27
.LBB65_7:
	s_wait_kmcnt 0x0
	s_mov_b32 s27, s2
.LBB65_8:
	s_cmp_eq_u32 s26, 0
	s_cselect_b32 s2, -1, 0
	s_wait_kmcnt 0x0
	s_cmp_eq_u32 s27, 1
	s_cselect_b32 s3, -1, 0
	s_delay_alu instid0(SALU_CYCLE_1) | instskip(NEXT) | instid1(SALU_CYCLE_1)
	s_and_b32 s2, s2, s3
	s_and_b32 vcc_lo, exec_lo, s2
	s_cbranch_vccnz .LBB65_52
; %bb.9:
	s_clause 0x1
	s_load_b128 s[8:11], s[0:1], 0x0
	s_load_b64 s[2:3], s[0:1], 0x28
	s_bfe_u32 s4, ttmp6, 0x4000c
	s_and_b32 s5, ttmp6, 15
	s_add_co_i32 s4, s4, 1
	s_mov_b64 s[22:23], 0
	s_mul_i32 s6, ttmp9, s4
	s_getreg_b32 s4, hwreg(HW_REG_IB_STS2, 6, 4)
	s_add_co_i32 s5, s5, s6
	s_cmp_eq_u32 s4, 0
	s_mov_b64 s[24:25], 0
	s_cselect_b32 s6, ttmp9, s5
	s_wait_kmcnt 0x0
	s_cmp_lt_i32 s6, s10
	s_cselect_b32 s28, -1, 0
	s_cmp_ge_i32 s6, s10
	s_cbranch_scc1 .LBB65_11
; %bb.10:
	s_ashr_i32 s7, s6, 31
	s_mov_b32 s15, 0
	s_lshl_b64 s[12:13], s[6:7], 3
	s_mov_b32 s14, s21
	s_add_nc_u64 s[12:13], s[2:3], s[12:13]
	s_load_b64 s[12:13], s[12:13], 0x0
	s_wait_kmcnt 0x0
	s_sub_nc_u64 s[24:25], s[12:13], s[14:15]
.LBB65_11:
	s_and_not1_b32 vcc_lo, exec_lo, s28
	s_cbranch_vccnz .LBB65_13
; %bb.12:
	s_ashr_i32 s7, s6, 31
	s_delay_alu instid0(SALU_CYCLE_1) | instskip(NEXT) | instid1(SALU_CYCLE_1)
	s_lshl_b64 s[12:13], s[6:7], 3
	s_add_nc_u64 s[2:3], s[2:3], s[12:13]
	s_mov_b32 s13, 0
	s_load_b64 s[2:3], s[2:3], 0x8
	s_mov_b32 s12, s21
	s_wait_kmcnt 0x0
	s_sub_nc_u64 s[22:23], s[2:3], s[12:13]
.LBB65_13:
	s_bfe_u32 s2, ttmp6, 0x40010
	s_load_b32 s7, s[0:1], 0x40
	s_add_co_i32 s2, s2, 1
	s_bfe_u32 s3, ttmp6, 0x40004
	s_mul_i32 s2, ttmp7, s2
	v_bfe_u32 v4, v0, 10, 10
	s_add_co_i32 s3, s3, s2
	s_cmp_eq_u32 s4, 0
	v_and_b32_e32 v6, 0x3ff, v0
	s_cselect_b32 s2, ttmp7, s3
	s_delay_alu instid0(SALU_CYCLE_1) | instskip(SKIP_1) | instid1(VALU_DEP_2)
	v_lshl_add_u32 v2, s2, 5, v4
	v_cmp_ge_i64_e64 s2, s[24:25], s[22:23]
	v_add_nc_u32_e32 v0, 16, v2
	v_cmp_gt_i32_e64 s3, s11, v2
	s_and_b32 vcc_lo, exec_lo, s2
	s_wait_kmcnt 0x0
	v_cmp_gt_i32_e64 s2, s7, v6
	v_cmp_gt_i32_e64 s4, s11, v0
	s_cbranch_vccnz .LBB65_31
; %bb.14:
	s_clause 0x1
	s_load_b128 s[12:15], s[0:1], 0x30
	s_load_b128 s[16:19], s[0:1], 0x48
	v_mul_lo_u32 v12, s7, v4
	v_dual_mov_b32 v13, 0 :: v_dual_ashrrev_i32 v3, 31, v2
	v_dual_ashrrev_i32 v1, 31, v0 :: v_dual_lshlrev_b32 v20, 2, v6
	v_cmp_gt_i32_e32 vcc_lo, s7, v4
	s_delay_alu instid0(VALU_DEP_3)
	v_dual_mov_b32 v7, v13 :: v_dual_mov_b32 v5, v13
	v_lshl_add_u32 v21, v4, 2, 0x200
	v_dual_lshlrev_b32 v18, 4, v4 :: v_dual_lshlrev_b32 v22, 4, v6
	s_and_b32 s10, s2, vcc_lo
	s_bitcmp1_b32 s8, 0
	s_mul_i32 s8, s7, s7
	s_cselect_b32 s5, -1, 0
	s_cmp_eq_u32 s9, 0
	v_add_nc_u32_e32 v19, 0x100, v18
	s_cselect_b32 vcc_lo, -1, 0
	s_wait_kmcnt 0x0
	v_add_nc_u64_e32 v[14:15], s[14:15], v[12:13]
	v_mul_lo_u32 v12, s7, v6
	v_mul_u64_e32 v[8:9], s[18:19], v[2:3]
	v_mul_u64_e32 v[10:11], s[18:19], v[0:1]
	v_add_nc_u32_e32 v21, v21, v22
	v_add_nc_u32_e32 v20, v20, v18
	v_add_nc_u64_e32 v[16:17], s[14:15], v[12:13]
	v_add_nc_u64_e32 v[12:13], v[14:15], v[6:7]
	s_delay_alu instid0(VALU_DEP_2) | instskip(NEXT) | instid1(VALU_DEP_1)
	v_add_nc_u64_e32 v[4:5], v[16:17], v[4:5]
	v_dual_cndmask_b32 v12, v12, v4 :: v_dual_add_nc_u32 v7, 0x200, v22
	s_delay_alu instid0(VALU_DEP_2)
	v_cndmask_b32_e32 v13, v13, v5, vcc_lo
	v_mov_b64_e32 v[4:5], 0
	s_branch .LBB65_17
.LBB65_15:                              ;   in Loop: Header=BB65_17 Depth=1
	s_or_b32 exec_lo, exec_lo, s14
.LBB65_16:                              ;   in Loop: Header=BB65_17 Depth=1
	s_delay_alu instid0(SALU_CYCLE_1) | instskip(SKIP_1) | instid1(SALU_CYCLE_1)
	s_or_b32 exec_lo, exec_lo, s9
	s_add_nc_u64 s[24:25], s[24:25], 1
	v_cmp_ge_i64_e64 s9, s[24:25], s[22:23]
	s_barrier_signal -1
	s_barrier_wait -1
	s_and_b32 vcc_lo, exec_lo, s9
	s_cbranch_vccnz .LBB65_32
.LBB65_17:                              ; =>This Loop Header: Depth=1
                                        ;     Child Loop BB65_27 Depth 2
                                        ;     Child Loop BB65_30 Depth 2
	s_and_saveexec_b32 s9, s2
	s_cbranch_execz .LBB65_22
; %bb.18:                               ;   in Loop: Header=BB65_17 Depth=1
	s_lshl_b64 s[14:15], s[24:25], 2
	s_delay_alu instid0(SALU_CYCLE_1) | instskip(SKIP_3) | instid1(SALU_CYCLE_1)
	s_add_nc_u64 s[14:15], s[12:13], s[14:15]
	s_load_b32 s14, s[14:15], 0x0
	s_wait_kmcnt 0x0
	s_sub_co_i32 s14, s14, s21
	v_mad_u32 v16, s14, s7, v6
	s_delay_alu instid0(VALU_DEP_1) | instskip(SKIP_1) | instid1(VALU_DEP_2)
	v_mad_nc_u64_u32 v[14:15], s18, v16, s[16:17]
	v_ashrrev_i32_e32 v17, 31, v16
	v_mad_u32 v15, s19, v16, v15
	s_delay_alu instid0(VALU_DEP_1)
	v_mad_u32 v15, s18, v17, v15
	v_add_nc_u64_e32 v[16:17], s[16:17], v[16:17]
	s_and_saveexec_b32 s14, s3
	s_cbranch_execz .LBB65_20
; %bb.19:                               ;   in Loop: Header=BB65_17 Depth=1
	s_delay_alu instid0(VALU_DEP_2) | instskip(NEXT) | instid1(VALU_DEP_2)
	v_add_nc_u64_e32 v[22:23], v[14:15], v[2:3]
	v_add_nc_u64_e32 v[24:25], v[16:17], v[8:9]
	s_delay_alu instid0(VALU_DEP_1)
	v_dual_cndmask_b32 v23, v23, v25, s5 :: v_dual_cndmask_b32 v22, v22, v24, s5
	global_load_i8 v22, v[22:23], off
	s_wait_loadcnt 0x0
	ds_store_b32 v20, v22
.LBB65_20:                              ;   in Loop: Header=BB65_17 Depth=1
	s_or_b32 exec_lo, exec_lo, s14
	s_delay_alu instid0(SALU_CYCLE_1)
	s_and_b32 exec_lo, exec_lo, s4
	s_cbranch_execz .LBB65_22
; %bb.21:                               ;   in Loop: Header=BB65_17 Depth=1
	s_delay_alu instid0(VALU_DEP_1) | instskip(NEXT) | instid1(VALU_DEP_3)
	v_add_nc_u64_e32 v[16:17], v[16:17], v[10:11]
	v_add_nc_u64_e32 v[14:15], v[14:15], v[0:1]
	s_delay_alu instid0(VALU_DEP_1)
	v_dual_cndmask_b32 v15, v15, v17, s5 :: v_dual_cndmask_b32 v14, v14, v16, s5
	global_load_i8 v14, v[14:15], off
	s_wait_loadcnt 0x0
	ds_store_b32 v20, v14 offset:256
.LBB65_22:                              ;   in Loop: Header=BB65_17 Depth=1
	s_or_b32 exec_lo, exec_lo, s9
	s_and_saveexec_b32 s9, s10
	s_cbranch_execz .LBB65_24
; %bb.23:                               ;   in Loop: Header=BB65_17 Depth=1
	v_mad_nc_u64_u32 v[14:15], s24, s8, v[12:13]
	s_delay_alu instid0(VALU_DEP_1)
	v_mad_u32 v15, s25, s8, v15
	global_load_i8 v14, v[14:15], off
	s_wait_loadcnt 0x0
	ds_store_b32 v21, v14
.LBB65_24:                              ;   in Loop: Header=BB65_17 Depth=1
	s_or_b32 exec_lo, exec_lo, s9
	s_wait_dscnt 0x0
	s_barrier_signal -1
	s_barrier_wait -1
	s_and_saveexec_b32 s9, s2
	s_cbranch_execz .LBB65_16
; %bb.25:                               ;   in Loop: Header=BB65_17 Depth=1
	s_and_saveexec_b32 s14, s3
	s_cbranch_execz .LBB65_28
; %bb.26:                               ;   in Loop: Header=BB65_17 Depth=1
	v_dual_mov_b32 v14, v7 :: v_dual_mov_b32 v15, v18
	s_mov_b32 s15, s7
.LBB65_27:                              ;   Parent Loop BB65_17 Depth=1
                                        ; =>  This Inner Loop Header: Depth=2
	ds_load_b32 v16, v14
	ds_load_b32 v17, v15
	v_dual_add_nc_u32 v15, 4, v15 :: v_dual_add_nc_u32 v14, 4, v14
	s_add_co_i32 s15, s15, -1
	s_delay_alu instid0(SALU_CYCLE_1)
	s_cmp_lg_u32 s15, 0
	s_wait_dscnt 0x0
	v_mad_u32 v4, v17, v16, v4
	s_cbranch_scc1 .LBB65_27
.LBB65_28:                              ;   in Loop: Header=BB65_17 Depth=1
	s_or_b32 exec_lo, exec_lo, s14
	s_and_saveexec_b32 s14, s4
	s_cbranch_execz .LBB65_15
; %bb.29:                               ;   in Loop: Header=BB65_17 Depth=1
	v_dual_mov_b32 v14, v7 :: v_dual_mov_b32 v15, v19
	s_mov_b32 s15, s7
.LBB65_30:                              ;   Parent Loop BB65_17 Depth=1
                                        ; =>  This Inner Loop Header: Depth=2
	ds_load_b32 v16, v14
	ds_load_b32 v17, v15
	v_dual_add_nc_u32 v15, 4, v15 :: v_dual_add_nc_u32 v14, 4, v14
	s_add_co_i32 s15, s15, -1
	s_delay_alu instid0(SALU_CYCLE_1)
	s_cmp_lg_u32 s15, 0
	s_wait_dscnt 0x0
	v_mad_u32 v5, v17, v16, v5
	s_cbranch_scc1 .LBB65_30
	s_branch .LBB65_15
.LBB65_31:
	v_mov_b64_e32 v[4:5], 0
.LBB65_32:
	s_load_b64 s[4:5], s[0:1], 0x68
	s_and_b32 s2, s28, s2
	s_delay_alu instid0(SALU_CYCLE_1)
	s_and_saveexec_b32 s3, s2
	s_cbranch_execz .LBB65_52
; %bb.33:
	s_load_b64 s[2:3], s[0:1], 0x70
	v_mad_u32 v6, s7, s6, v6
	s_cmp_lg_u32 s27, 0
	s_wait_xcnt 0x0
	s_mov_b32 s0, exec_lo
	s_cselect_b32 s6, -1, 0
	s_cmp_lg_u32 s20, 1
	s_cselect_b32 s1, -1, 0
	s_delay_alu instid0(VALU_DEP_1) | instskip(SKIP_1) | instid1(VALU_DEP_1)
	v_ashrrev_i32_e32 v7, 31, v6
	s_wait_kmcnt 0x0
	v_mul_u64_e32 v[8:9], s[2:3], v[6:7]
	v_lshl_add_u64 v[6:7], v[6:7], 2, s[4:5]
	s_delay_alu instid0(VALU_DEP_2)
	v_lshl_add_u64 v[8:9], v[8:9], 2, s[4:5]
	v_cmpx_gt_i32_e64 s11, v2
	s_cbranch_execz .LBB65_45
; %bb.34:
	v_ashrrev_i32_e32 v3, 31, v2
	s_and_b32 vcc_lo, exec_lo, s6
	s_cbranch_vccz .LBB65_40
; %bb.35:
	s_and_b32 vcc_lo, exec_lo, s1
	s_mov_b32 s4, -1
	s_cbranch_vccz .LBB65_37
; %bb.36:
	v_lshl_add_u64 v[10:11], v[2:3], 2, v[8:9]
	v_mul_lo_u32 v12, v4, s26
	s_mov_b32 s4, 0
	global_load_b32 v1, v[10:11], off
	s_wait_loadcnt 0x0
	v_mad_u32 v1, v1, s27, v12
	global_store_b32 v[10:11], v1, off
.LBB65_37:
	s_and_not1_b32 vcc_lo, exec_lo, s4
	s_cbranch_vccnz .LBB65_39
; %bb.38:
	s_wait_xcnt 0x0
	v_mul_u64_e32 v[10:11], s[2:3], v[2:3]
	v_mul_lo_u32 v12, v4, s26
	s_delay_alu instid0(VALU_DEP_2)
	v_lshl_add_u64 v[10:11], v[10:11], 2, v[6:7]
	global_load_b32 v1, v[10:11], off
	s_wait_loadcnt 0x0
	v_mad_u32 v1, v1, s27, v12
	global_store_b32 v[10:11], v1, off
.LBB65_39:
	s_cbranch_execz .LBB65_41
	s_branch .LBB65_45
.LBB65_40:
.LBB65_41:
	s_wait_xcnt 0x0
	v_mul_lo_u32 v1, v4, s26
	s_and_b32 vcc_lo, exec_lo, s1
	s_mov_b32 s4, -1
	s_cbranch_vccz .LBB65_43
; %bb.42:
	v_lshl_add_u64 v[10:11], v[2:3], 2, v[8:9]
	s_mov_b32 s4, 0
	global_store_b32 v[10:11], v1, off
.LBB65_43:
	s_and_not1_b32 vcc_lo, exec_lo, s4
	s_cbranch_vccnz .LBB65_45
; %bb.44:
	v_mul_u64_e32 v[2:3], s[2:3], v[2:3]
	s_delay_alu instid0(VALU_DEP_1)
	v_lshl_add_u64 v[2:3], v[2:3], 2, v[6:7]
	global_store_b32 v[2:3], v1, off
.LBB65_45:
	s_wait_xcnt 0x0
	s_or_b32 exec_lo, exec_lo, s0
	v_cmp_gt_i32_e32 vcc_lo, s11, v0
	s_and_b32 exec_lo, exec_lo, vcc_lo
	s_cbranch_execz .LBB65_52
; %bb.46:
	v_cndmask_b32_e64 v2, 0, 1, s1
	v_ashrrev_i32_e32 v1, 31, v0
	s_and_not1_b32 vcc_lo, exec_lo, s6
	s_delay_alu instid0(VALU_DEP_2)
	v_cmp_ne_u32_e64 s0, 1, v2
	s_cbranch_vccnz .LBB65_53
; %bb.47:
	s_and_b32 vcc_lo, exec_lo, s0
	s_mov_b32 s0, -1
	s_cbranch_vccnz .LBB65_49
; %bb.48:
	v_lshl_add_u64 v[2:3], v[0:1], 2, v[8:9]
	v_mul_lo_u32 v10, v5, s26
	s_mov_b32 s0, 0
	global_load_b32 v4, v[2:3], off
	s_wait_loadcnt 0x0
	v_mad_u32 v4, v4, s27, v10
	global_store_b32 v[2:3], v4, off
.LBB65_49:
	s_and_not1_b32 vcc_lo, exec_lo, s0
	s_cbranch_vccnz .LBB65_51
; %bb.50:
	s_wait_xcnt 0x0
	v_mul_u64_e32 v[2:3], s[2:3], v[0:1]
	v_mul_lo_u32 v10, v5, s26
	s_delay_alu instid0(VALU_DEP_2)
	v_lshl_add_u64 v[2:3], v[2:3], 2, v[6:7]
	global_load_b32 v4, v[2:3], off
	s_wait_loadcnt 0x0
	v_mad_u32 v4, v4, s27, v10
	global_store_b32 v[2:3], v4, off
.LBB65_51:
	s_cbranch_execz .LBB65_54
.LBB65_52:
	s_endpgm
.LBB65_53:
.LBB65_54:
	s_wait_xcnt 0x0
	v_mul_lo_u32 v2, v5, s26
	s_and_not1_b32 vcc_lo, exec_lo, s1
	s_mov_b32 s0, -1
	s_cbranch_vccnz .LBB65_56
; %bb.55:
	v_lshl_add_u64 v[4:5], v[0:1], 2, v[8:9]
	s_mov_b32 s0, 0
	global_store_b32 v[4:5], v2, off
.LBB65_56:
	s_and_not1_b32 vcc_lo, exec_lo, s0
	s_cbranch_vccnz .LBB65_52
; %bb.57:
	v_mul_u64_e32 v[0:1], s[2:3], v[0:1]
	s_delay_alu instid0(VALU_DEP_1)
	v_lshl_add_u64 v[0:1], v[0:1], 2, v[6:7]
	global_store_b32 v[0:1], v2, off
	s_endpgm
	.section	.rodata,"a",@progbits
	.p2align	6, 0x0
	.amdhsa_kernel _ZN9rocsparseL31bsrmm_large_blockdim_kernel_extILj4ELj16ELj2EliaaiiEEvb20rocsparse_direction_T3_S2_llNS_24const_host_device_scalarIT7_EEPKT2_PKS2_PKT4_S2_PKT5_llS5_PT6_ll16rocsparse_order_21rocsparse_index_base_b
		.amdhsa_group_segment_fixed_size 576
		.amdhsa_private_segment_fixed_size 0
		.amdhsa_kernarg_size 140
		.amdhsa_user_sgpr_count 2
		.amdhsa_user_sgpr_dispatch_ptr 0
		.amdhsa_user_sgpr_queue_ptr 0
		.amdhsa_user_sgpr_kernarg_segment_ptr 1
		.amdhsa_user_sgpr_dispatch_id 0
		.amdhsa_user_sgpr_kernarg_preload_length 0
		.amdhsa_user_sgpr_kernarg_preload_offset 0
		.amdhsa_user_sgpr_private_segment_size 0
		.amdhsa_wavefront_size32 1
		.amdhsa_uses_dynamic_stack 0
		.amdhsa_enable_private_segment 0
		.amdhsa_system_sgpr_workgroup_id_x 1
		.amdhsa_system_sgpr_workgroup_id_y 1
		.amdhsa_system_sgpr_workgroup_id_z 0
		.amdhsa_system_sgpr_workgroup_info 0
		.amdhsa_system_vgpr_workitem_id 1
		.amdhsa_next_free_vgpr 26
		.amdhsa_next_free_sgpr 29
		.amdhsa_named_barrier_count 0
		.amdhsa_reserve_vcc 1
		.amdhsa_float_round_mode_32 0
		.amdhsa_float_round_mode_16_64 0
		.amdhsa_float_denorm_mode_32 3
		.amdhsa_float_denorm_mode_16_64 3
		.amdhsa_fp16_overflow 0
		.amdhsa_memory_ordered 1
		.amdhsa_forward_progress 1
		.amdhsa_inst_pref_size 15
		.amdhsa_round_robin_scheduling 0
		.amdhsa_exception_fp_ieee_invalid_op 0
		.amdhsa_exception_fp_denorm_src 0
		.amdhsa_exception_fp_ieee_div_zero 0
		.amdhsa_exception_fp_ieee_overflow 0
		.amdhsa_exception_fp_ieee_underflow 0
		.amdhsa_exception_fp_ieee_inexact 0
		.amdhsa_exception_int_div_zero 0
	.end_amdhsa_kernel
	.section	.text._ZN9rocsparseL31bsrmm_large_blockdim_kernel_extILj4ELj16ELj2EliaaiiEEvb20rocsparse_direction_T3_S2_llNS_24const_host_device_scalarIT7_EEPKT2_PKS2_PKT4_S2_PKT5_llS5_PT6_ll16rocsparse_order_21rocsparse_index_base_b,"axG",@progbits,_ZN9rocsparseL31bsrmm_large_blockdim_kernel_extILj4ELj16ELj2EliaaiiEEvb20rocsparse_direction_T3_S2_llNS_24const_host_device_scalarIT7_EEPKT2_PKS2_PKT4_S2_PKT5_llS5_PT6_ll16rocsparse_order_21rocsparse_index_base_b,comdat
.Lfunc_end65:
	.size	_ZN9rocsparseL31bsrmm_large_blockdim_kernel_extILj4ELj16ELj2EliaaiiEEvb20rocsparse_direction_T3_S2_llNS_24const_host_device_scalarIT7_EEPKT2_PKS2_PKT4_S2_PKT5_llS5_PT6_ll16rocsparse_order_21rocsparse_index_base_b, .Lfunc_end65-_ZN9rocsparseL31bsrmm_large_blockdim_kernel_extILj4ELj16ELj2EliaaiiEEvb20rocsparse_direction_T3_S2_llNS_24const_host_device_scalarIT7_EEPKT2_PKS2_PKT4_S2_PKT5_llS5_PT6_ll16rocsparse_order_21rocsparse_index_base_b
                                        ; -- End function
	.set _ZN9rocsparseL31bsrmm_large_blockdim_kernel_extILj4ELj16ELj2EliaaiiEEvb20rocsparse_direction_T3_S2_llNS_24const_host_device_scalarIT7_EEPKT2_PKS2_PKT4_S2_PKT5_llS5_PT6_ll16rocsparse_order_21rocsparse_index_base_b.num_vgpr, 26
	.set _ZN9rocsparseL31bsrmm_large_blockdim_kernel_extILj4ELj16ELj2EliaaiiEEvb20rocsparse_direction_T3_S2_llNS_24const_host_device_scalarIT7_EEPKT2_PKS2_PKT4_S2_PKT5_llS5_PT6_ll16rocsparse_order_21rocsparse_index_base_b.num_agpr, 0
	.set _ZN9rocsparseL31bsrmm_large_blockdim_kernel_extILj4ELj16ELj2EliaaiiEEvb20rocsparse_direction_T3_S2_llNS_24const_host_device_scalarIT7_EEPKT2_PKS2_PKT4_S2_PKT5_llS5_PT6_ll16rocsparse_order_21rocsparse_index_base_b.numbered_sgpr, 29
	.set _ZN9rocsparseL31bsrmm_large_blockdim_kernel_extILj4ELj16ELj2EliaaiiEEvb20rocsparse_direction_T3_S2_llNS_24const_host_device_scalarIT7_EEPKT2_PKS2_PKT4_S2_PKT5_llS5_PT6_ll16rocsparse_order_21rocsparse_index_base_b.num_named_barrier, 0
	.set _ZN9rocsparseL31bsrmm_large_blockdim_kernel_extILj4ELj16ELj2EliaaiiEEvb20rocsparse_direction_T3_S2_llNS_24const_host_device_scalarIT7_EEPKT2_PKS2_PKT4_S2_PKT5_llS5_PT6_ll16rocsparse_order_21rocsparse_index_base_b.private_seg_size, 0
	.set _ZN9rocsparseL31bsrmm_large_blockdim_kernel_extILj4ELj16ELj2EliaaiiEEvb20rocsparse_direction_T3_S2_llNS_24const_host_device_scalarIT7_EEPKT2_PKS2_PKT4_S2_PKT5_llS5_PT6_ll16rocsparse_order_21rocsparse_index_base_b.uses_vcc, 1
	.set _ZN9rocsparseL31bsrmm_large_blockdim_kernel_extILj4ELj16ELj2EliaaiiEEvb20rocsparse_direction_T3_S2_llNS_24const_host_device_scalarIT7_EEPKT2_PKS2_PKT4_S2_PKT5_llS5_PT6_ll16rocsparse_order_21rocsparse_index_base_b.uses_flat_scratch, 0
	.set _ZN9rocsparseL31bsrmm_large_blockdim_kernel_extILj4ELj16ELj2EliaaiiEEvb20rocsparse_direction_T3_S2_llNS_24const_host_device_scalarIT7_EEPKT2_PKS2_PKT4_S2_PKT5_llS5_PT6_ll16rocsparse_order_21rocsparse_index_base_b.has_dyn_sized_stack, 0
	.set _ZN9rocsparseL31bsrmm_large_blockdim_kernel_extILj4ELj16ELj2EliaaiiEEvb20rocsparse_direction_T3_S2_llNS_24const_host_device_scalarIT7_EEPKT2_PKS2_PKT4_S2_PKT5_llS5_PT6_ll16rocsparse_order_21rocsparse_index_base_b.has_recursion, 0
	.set _ZN9rocsparseL31bsrmm_large_blockdim_kernel_extILj4ELj16ELj2EliaaiiEEvb20rocsparse_direction_T3_S2_llNS_24const_host_device_scalarIT7_EEPKT2_PKS2_PKT4_S2_PKT5_llS5_PT6_ll16rocsparse_order_21rocsparse_index_base_b.has_indirect_call, 0
	.section	.AMDGPU.csdata,"",@progbits
; Kernel info:
; codeLenInByte = 1816
; TotalNumSgprs: 31
; NumVgprs: 26
; ScratchSize: 0
; MemoryBound: 0
; FloatMode: 240
; IeeeMode: 1
; LDSByteSize: 576 bytes/workgroup (compile time only)
; SGPRBlocks: 0
; VGPRBlocks: 1
; NumSGPRsForWavesPerEU: 31
; NumVGPRsForWavesPerEU: 26
; NamedBarCnt: 0
; Occupancy: 16
; WaveLimiterHint : 1
; COMPUTE_PGM_RSRC2:SCRATCH_EN: 0
; COMPUTE_PGM_RSRC2:USER_SGPR: 2
; COMPUTE_PGM_RSRC2:TRAP_HANDLER: 0
; COMPUTE_PGM_RSRC2:TGID_X_EN: 1
; COMPUTE_PGM_RSRC2:TGID_Y_EN: 1
; COMPUTE_PGM_RSRC2:TGID_Z_EN: 0
; COMPUTE_PGM_RSRC2:TIDIG_COMP_CNT: 1
	.section	.text._ZN9rocsparseL31bsrmm_large_blockdim_kernel_extILj16ELj16ELj2EliaaiiEEvb20rocsparse_direction_T3_S2_llNS_24const_host_device_scalarIT7_EEPKT2_PKS2_PKT4_S2_PKT5_llS5_PT6_ll16rocsparse_order_21rocsparse_index_base_b,"axG",@progbits,_ZN9rocsparseL31bsrmm_large_blockdim_kernel_extILj16ELj16ELj2EliaaiiEEvb20rocsparse_direction_T3_S2_llNS_24const_host_device_scalarIT7_EEPKT2_PKS2_PKT4_S2_PKT5_llS5_PT6_ll16rocsparse_order_21rocsparse_index_base_b,comdat
	.globl	_ZN9rocsparseL31bsrmm_large_blockdim_kernel_extILj16ELj16ELj2EliaaiiEEvb20rocsparse_direction_T3_S2_llNS_24const_host_device_scalarIT7_EEPKT2_PKS2_PKT4_S2_PKT5_llS5_PT6_ll16rocsparse_order_21rocsparse_index_base_b ; -- Begin function _ZN9rocsparseL31bsrmm_large_blockdim_kernel_extILj16ELj16ELj2EliaaiiEEvb20rocsparse_direction_T3_S2_llNS_24const_host_device_scalarIT7_EEPKT2_PKS2_PKT4_S2_PKT5_llS5_PT6_ll16rocsparse_order_21rocsparse_index_base_b
	.p2align	8
	.type	_ZN9rocsparseL31bsrmm_large_blockdim_kernel_extILj16ELj16ELj2EliaaiiEEvb20rocsparse_direction_T3_S2_llNS_24const_host_device_scalarIT7_EEPKT2_PKS2_PKT4_S2_PKT5_llS5_PT6_ll16rocsparse_order_21rocsparse_index_base_b,@function
_ZN9rocsparseL31bsrmm_large_blockdim_kernel_extILj16ELj16ELj2EliaaiiEEvb20rocsparse_direction_T3_S2_llNS_24const_host_device_scalarIT7_EEPKT2_PKS2_PKT4_S2_PKT5_llS5_PT6_ll16rocsparse_order_21rocsparse_index_base_b: ; @_ZN9rocsparseL31bsrmm_large_blockdim_kernel_extILj16ELj16ELj2EliaaiiEEvb20rocsparse_direction_T3_S2_llNS_24const_host_device_scalarIT7_EEPKT2_PKS2_PKT4_S2_PKT5_llS5_PT6_ll16rocsparse_order_21rocsparse_index_base_b
; %bb.0:
	s_clause 0x1
	s_load_b96 s[20:22], s[0:1], 0x80
	s_load_b64 s[4:5], s[0:1], 0x20
	s_mov_b32 s7, -1
                                        ; implicit-def: $sgpr26
	s_wait_kmcnt 0x0
	s_bitcmp1_b32 s22, 0
	s_cselect_b32 s2, -1, 0
	s_delay_alu instid0(SALU_CYCLE_1) | instskip(NEXT) | instid1(SALU_CYCLE_1)
	s_xor_b32 s6, s2, -1
	s_and_b32 vcc_lo, exec_lo, s6
	s_cbranch_vccnz .LBB66_4
; %bb.1:
	s_load_b64 s[2:3], s[0:1], 0x60
	s_and_not1_b32 vcc_lo, exec_lo, s7
	s_cbranch_vccz .LBB66_5
.LBB66_2:
	s_and_b32 vcc_lo, exec_lo, s6
	s_cbranch_vccz .LBB66_6
.LBB66_3:
	s_wait_kmcnt 0x0
	s_load_b32 s27, s[2:3], 0x0
	s_wait_xcnt 0x0
	s_cbranch_execz .LBB66_7
	s_branch .LBB66_8
.LBB66_4:
	s_load_b32 s26, s[4:5], 0x0
	s_load_b64 s[2:3], s[0:1], 0x60
	s_cbranch_execnz .LBB66_2
.LBB66_5:
	s_wait_kmcnt 0x0
	s_mov_b32 s26, s4
	s_and_b32 vcc_lo, exec_lo, s6
	s_cbranch_vccnz .LBB66_3
.LBB66_6:
	s_wait_kmcnt 0x0
                                        ; implicit-def: $sgpr27
.LBB66_7:
	s_wait_kmcnt 0x0
	s_mov_b32 s27, s2
.LBB66_8:
	s_cmp_eq_u32 s26, 0
	s_cselect_b32 s2, -1, 0
	s_wait_kmcnt 0x0
	s_cmp_eq_u32 s27, 1
	s_cselect_b32 s3, -1, 0
	s_delay_alu instid0(SALU_CYCLE_1) | instskip(NEXT) | instid1(SALU_CYCLE_1)
	s_and_b32 s2, s2, s3
	s_and_b32 vcc_lo, exec_lo, s2
	s_cbranch_vccnz .LBB66_52
; %bb.9:
	s_clause 0x1
	s_load_b128 s[8:11], s[0:1], 0x0
	s_load_b64 s[2:3], s[0:1], 0x28
	s_bfe_u32 s4, ttmp6, 0x4000c
	s_and_b32 s5, ttmp6, 15
	s_add_co_i32 s4, s4, 1
	s_mov_b64 s[22:23], 0
	s_mul_i32 s6, ttmp9, s4
	s_getreg_b32 s4, hwreg(HW_REG_IB_STS2, 6, 4)
	s_add_co_i32 s5, s5, s6
	s_cmp_eq_u32 s4, 0
	s_mov_b64 s[24:25], 0
	s_cselect_b32 s6, ttmp9, s5
	s_wait_kmcnt 0x0
	s_cmp_lt_i32 s6, s10
	s_cselect_b32 s28, -1, 0
	s_cmp_ge_i32 s6, s10
	s_cbranch_scc1 .LBB66_11
; %bb.10:
	s_ashr_i32 s7, s6, 31
	s_mov_b32 s15, 0
	s_lshl_b64 s[12:13], s[6:7], 3
	s_mov_b32 s14, s21
	s_add_nc_u64 s[12:13], s[2:3], s[12:13]
	s_load_b64 s[12:13], s[12:13], 0x0
	s_wait_kmcnt 0x0
	s_sub_nc_u64 s[24:25], s[12:13], s[14:15]
.LBB66_11:
	s_and_not1_b32 vcc_lo, exec_lo, s28
	s_cbranch_vccnz .LBB66_13
; %bb.12:
	s_ashr_i32 s7, s6, 31
	s_delay_alu instid0(SALU_CYCLE_1) | instskip(NEXT) | instid1(SALU_CYCLE_1)
	s_lshl_b64 s[12:13], s[6:7], 3
	s_add_nc_u64 s[2:3], s[2:3], s[12:13]
	s_mov_b32 s13, 0
	s_load_b64 s[2:3], s[2:3], 0x8
	s_mov_b32 s12, s21
	s_wait_kmcnt 0x0
	s_sub_nc_u64 s[22:23], s[2:3], s[12:13]
.LBB66_13:
	s_bfe_u32 s2, ttmp6, 0x40010
	s_load_b32 s7, s[0:1], 0x40
	s_add_co_i32 s2, s2, 1
	s_bfe_u32 s3, ttmp6, 0x40004
	s_mul_i32 s2, ttmp7, s2
	v_bfe_u32 v4, v0, 10, 10
	s_add_co_i32 s3, s3, s2
	s_cmp_eq_u32 s4, 0
	v_and_b32_e32 v6, 0x3ff, v0
	s_cselect_b32 s2, ttmp7, s3
	s_delay_alu instid0(SALU_CYCLE_1) | instskip(SKIP_1) | instid1(VALU_DEP_2)
	v_lshl_add_u32 v2, s2, 5, v4
	v_cmp_ge_i64_e64 s2, s[24:25], s[22:23]
	v_add_nc_u32_e32 v0, 16, v2
	v_cmp_gt_i32_e64 s3, s11, v2
	s_and_b32 vcc_lo, exec_lo, s2
	s_wait_kmcnt 0x0
	v_cmp_gt_i32_e64 s2, s7, v6
	v_cmp_gt_i32_e64 s4, s11, v0
	s_cbranch_vccnz .LBB66_31
; %bb.14:
	s_clause 0x1
	s_load_b128 s[12:15], s[0:1], 0x30
	s_load_b128 s[16:19], s[0:1], 0x48
	v_mul_lo_u32 v12, s7, v4
	v_dual_mov_b32 v13, 0 :: v_dual_ashrrev_i32 v3, 31, v2
	v_dual_ashrrev_i32 v1, 31, v0 :: v_dual_lshlrev_b32 v20, 2, v6
	v_cmp_gt_i32_e32 vcc_lo, s7, v4
	s_delay_alu instid0(VALU_DEP_3)
	v_dual_mov_b32 v7, v13 :: v_dual_mov_b32 v5, v13
	v_lshl_add_u32 v21, v4, 2, 0x800
	v_dual_lshlrev_b32 v18, 6, v4 :: v_dual_lshlrev_b32 v22, 6, v6
	s_and_b32 s10, s2, vcc_lo
	s_bitcmp1_b32 s8, 0
	s_mul_i32 s8, s7, s7
	s_cselect_b32 s5, -1, 0
	s_cmp_eq_u32 s9, 0
	v_add_nc_u32_e32 v19, 0x400, v18
	s_cselect_b32 vcc_lo, -1, 0
	s_wait_kmcnt 0x0
	v_add_nc_u64_e32 v[14:15], s[14:15], v[12:13]
	v_mul_lo_u32 v12, s7, v6
	v_mul_u64_e32 v[8:9], s[18:19], v[2:3]
	v_mul_u64_e32 v[10:11], s[18:19], v[0:1]
	v_add_nc_u32_e32 v21, v21, v22
	v_add_nc_u32_e32 v20, v20, v18
	v_add_nc_u64_e32 v[16:17], s[14:15], v[12:13]
	v_add_nc_u64_e32 v[12:13], v[14:15], v[6:7]
	s_delay_alu instid0(VALU_DEP_2) | instskip(NEXT) | instid1(VALU_DEP_1)
	v_add_nc_u64_e32 v[4:5], v[16:17], v[4:5]
	v_dual_cndmask_b32 v12, v12, v4 :: v_dual_add_nc_u32 v7, 0x800, v22
	s_delay_alu instid0(VALU_DEP_2)
	v_cndmask_b32_e32 v13, v13, v5, vcc_lo
	v_mov_b64_e32 v[4:5], 0
	s_branch .LBB66_17
.LBB66_15:                              ;   in Loop: Header=BB66_17 Depth=1
	s_or_b32 exec_lo, exec_lo, s14
.LBB66_16:                              ;   in Loop: Header=BB66_17 Depth=1
	s_delay_alu instid0(SALU_CYCLE_1) | instskip(SKIP_1) | instid1(SALU_CYCLE_1)
	s_or_b32 exec_lo, exec_lo, s9
	s_add_nc_u64 s[24:25], s[24:25], 1
	v_cmp_ge_i64_e64 s9, s[24:25], s[22:23]
	s_barrier_signal -1
	s_barrier_wait -1
	s_and_b32 vcc_lo, exec_lo, s9
	s_cbranch_vccnz .LBB66_32
.LBB66_17:                              ; =>This Loop Header: Depth=1
                                        ;     Child Loop BB66_27 Depth 2
                                        ;     Child Loop BB66_30 Depth 2
	s_and_saveexec_b32 s9, s2
	s_cbranch_execz .LBB66_22
; %bb.18:                               ;   in Loop: Header=BB66_17 Depth=1
	s_lshl_b64 s[14:15], s[24:25], 2
	s_delay_alu instid0(SALU_CYCLE_1) | instskip(SKIP_3) | instid1(SALU_CYCLE_1)
	s_add_nc_u64 s[14:15], s[12:13], s[14:15]
	s_load_b32 s14, s[14:15], 0x0
	s_wait_kmcnt 0x0
	s_sub_co_i32 s14, s14, s21
	v_mad_u32 v16, s14, s7, v6
	s_delay_alu instid0(VALU_DEP_1) | instskip(SKIP_1) | instid1(VALU_DEP_2)
	v_mad_nc_u64_u32 v[14:15], s18, v16, s[16:17]
	v_ashrrev_i32_e32 v17, 31, v16
	v_mad_u32 v15, s19, v16, v15
	s_delay_alu instid0(VALU_DEP_1)
	v_mad_u32 v15, s18, v17, v15
	v_add_nc_u64_e32 v[16:17], s[16:17], v[16:17]
	s_and_saveexec_b32 s14, s3
	s_cbranch_execz .LBB66_20
; %bb.19:                               ;   in Loop: Header=BB66_17 Depth=1
	s_delay_alu instid0(VALU_DEP_2) | instskip(NEXT) | instid1(VALU_DEP_2)
	v_add_nc_u64_e32 v[22:23], v[14:15], v[2:3]
	v_add_nc_u64_e32 v[24:25], v[16:17], v[8:9]
	s_delay_alu instid0(VALU_DEP_1)
	v_dual_cndmask_b32 v23, v23, v25, s5 :: v_dual_cndmask_b32 v22, v22, v24, s5
	global_load_i8 v22, v[22:23], off
	s_wait_loadcnt 0x0
	ds_store_b32 v20, v22
.LBB66_20:                              ;   in Loop: Header=BB66_17 Depth=1
	s_or_b32 exec_lo, exec_lo, s14
	s_delay_alu instid0(SALU_CYCLE_1)
	s_and_b32 exec_lo, exec_lo, s4
	s_cbranch_execz .LBB66_22
; %bb.21:                               ;   in Loop: Header=BB66_17 Depth=1
	s_delay_alu instid0(VALU_DEP_1) | instskip(NEXT) | instid1(VALU_DEP_3)
	v_add_nc_u64_e32 v[16:17], v[16:17], v[10:11]
	v_add_nc_u64_e32 v[14:15], v[14:15], v[0:1]
	s_delay_alu instid0(VALU_DEP_1)
	v_dual_cndmask_b32 v15, v15, v17, s5 :: v_dual_cndmask_b32 v14, v14, v16, s5
	global_load_i8 v14, v[14:15], off
	s_wait_loadcnt 0x0
	ds_store_b32 v20, v14 offset:1024
.LBB66_22:                              ;   in Loop: Header=BB66_17 Depth=1
	s_or_b32 exec_lo, exec_lo, s9
	s_and_saveexec_b32 s9, s10
	s_cbranch_execz .LBB66_24
; %bb.23:                               ;   in Loop: Header=BB66_17 Depth=1
	v_mad_nc_u64_u32 v[14:15], s24, s8, v[12:13]
	s_delay_alu instid0(VALU_DEP_1)
	v_mad_u32 v15, s25, s8, v15
	global_load_i8 v14, v[14:15], off
	s_wait_loadcnt 0x0
	ds_store_b32 v21, v14
.LBB66_24:                              ;   in Loop: Header=BB66_17 Depth=1
	s_or_b32 exec_lo, exec_lo, s9
	s_wait_dscnt 0x0
	s_barrier_signal -1
	s_barrier_wait -1
	s_and_saveexec_b32 s9, s2
	s_cbranch_execz .LBB66_16
; %bb.25:                               ;   in Loop: Header=BB66_17 Depth=1
	s_and_saveexec_b32 s14, s3
	s_cbranch_execz .LBB66_28
; %bb.26:                               ;   in Loop: Header=BB66_17 Depth=1
	v_dual_mov_b32 v14, v7 :: v_dual_mov_b32 v15, v18
	s_mov_b32 s15, s7
.LBB66_27:                              ;   Parent Loop BB66_17 Depth=1
                                        ; =>  This Inner Loop Header: Depth=2
	ds_load_b32 v16, v14
	ds_load_b32 v17, v15
	v_dual_add_nc_u32 v15, 4, v15 :: v_dual_add_nc_u32 v14, 4, v14
	s_add_co_i32 s15, s15, -1
	s_delay_alu instid0(SALU_CYCLE_1)
	s_cmp_lg_u32 s15, 0
	s_wait_dscnt 0x0
	v_mad_u32 v4, v17, v16, v4
	s_cbranch_scc1 .LBB66_27
.LBB66_28:                              ;   in Loop: Header=BB66_17 Depth=1
	s_or_b32 exec_lo, exec_lo, s14
	s_and_saveexec_b32 s14, s4
	s_cbranch_execz .LBB66_15
; %bb.29:                               ;   in Loop: Header=BB66_17 Depth=1
	v_dual_mov_b32 v14, v7 :: v_dual_mov_b32 v15, v19
	s_mov_b32 s15, s7
.LBB66_30:                              ;   Parent Loop BB66_17 Depth=1
                                        ; =>  This Inner Loop Header: Depth=2
	ds_load_b32 v16, v14
	ds_load_b32 v17, v15
	v_dual_add_nc_u32 v15, 4, v15 :: v_dual_add_nc_u32 v14, 4, v14
	s_add_co_i32 s15, s15, -1
	s_delay_alu instid0(SALU_CYCLE_1)
	s_cmp_lg_u32 s15, 0
	s_wait_dscnt 0x0
	v_mad_u32 v5, v17, v16, v5
	s_cbranch_scc1 .LBB66_30
	s_branch .LBB66_15
.LBB66_31:
	v_mov_b64_e32 v[4:5], 0
.LBB66_32:
	s_load_b64 s[4:5], s[0:1], 0x68
	s_and_b32 s2, s28, s2
	s_delay_alu instid0(SALU_CYCLE_1)
	s_and_saveexec_b32 s3, s2
	s_cbranch_execz .LBB66_52
; %bb.33:
	s_load_b64 s[2:3], s[0:1], 0x70
	v_mad_u32 v6, s7, s6, v6
	s_cmp_lg_u32 s27, 0
	s_wait_xcnt 0x0
	s_mov_b32 s0, exec_lo
	s_cselect_b32 s6, -1, 0
	s_cmp_lg_u32 s20, 1
	s_cselect_b32 s1, -1, 0
	s_delay_alu instid0(VALU_DEP_1) | instskip(SKIP_1) | instid1(VALU_DEP_1)
	v_ashrrev_i32_e32 v7, 31, v6
	s_wait_kmcnt 0x0
	v_mul_u64_e32 v[8:9], s[2:3], v[6:7]
	v_lshl_add_u64 v[6:7], v[6:7], 2, s[4:5]
	s_delay_alu instid0(VALU_DEP_2)
	v_lshl_add_u64 v[8:9], v[8:9], 2, s[4:5]
	v_cmpx_gt_i32_e64 s11, v2
	s_cbranch_execz .LBB66_45
; %bb.34:
	v_ashrrev_i32_e32 v3, 31, v2
	s_and_b32 vcc_lo, exec_lo, s6
	s_cbranch_vccz .LBB66_40
; %bb.35:
	s_and_b32 vcc_lo, exec_lo, s1
	s_mov_b32 s4, -1
	s_cbranch_vccz .LBB66_37
; %bb.36:
	v_lshl_add_u64 v[10:11], v[2:3], 2, v[8:9]
	v_mul_lo_u32 v12, v4, s26
	s_mov_b32 s4, 0
	global_load_b32 v1, v[10:11], off
	s_wait_loadcnt 0x0
	v_mad_u32 v1, v1, s27, v12
	global_store_b32 v[10:11], v1, off
.LBB66_37:
	s_and_not1_b32 vcc_lo, exec_lo, s4
	s_cbranch_vccnz .LBB66_39
; %bb.38:
	s_wait_xcnt 0x0
	v_mul_u64_e32 v[10:11], s[2:3], v[2:3]
	v_mul_lo_u32 v12, v4, s26
	s_delay_alu instid0(VALU_DEP_2)
	v_lshl_add_u64 v[10:11], v[10:11], 2, v[6:7]
	global_load_b32 v1, v[10:11], off
	s_wait_loadcnt 0x0
	v_mad_u32 v1, v1, s27, v12
	global_store_b32 v[10:11], v1, off
.LBB66_39:
	s_cbranch_execz .LBB66_41
	s_branch .LBB66_45
.LBB66_40:
.LBB66_41:
	s_wait_xcnt 0x0
	v_mul_lo_u32 v1, v4, s26
	s_and_b32 vcc_lo, exec_lo, s1
	s_mov_b32 s4, -1
	s_cbranch_vccz .LBB66_43
; %bb.42:
	v_lshl_add_u64 v[10:11], v[2:3], 2, v[8:9]
	s_mov_b32 s4, 0
	global_store_b32 v[10:11], v1, off
.LBB66_43:
	s_and_not1_b32 vcc_lo, exec_lo, s4
	s_cbranch_vccnz .LBB66_45
; %bb.44:
	v_mul_u64_e32 v[2:3], s[2:3], v[2:3]
	s_delay_alu instid0(VALU_DEP_1)
	v_lshl_add_u64 v[2:3], v[2:3], 2, v[6:7]
	global_store_b32 v[2:3], v1, off
.LBB66_45:
	s_wait_xcnt 0x0
	s_or_b32 exec_lo, exec_lo, s0
	v_cmp_gt_i32_e32 vcc_lo, s11, v0
	s_and_b32 exec_lo, exec_lo, vcc_lo
	s_cbranch_execz .LBB66_52
; %bb.46:
	v_cndmask_b32_e64 v2, 0, 1, s1
	v_ashrrev_i32_e32 v1, 31, v0
	s_and_not1_b32 vcc_lo, exec_lo, s6
	s_delay_alu instid0(VALU_DEP_2)
	v_cmp_ne_u32_e64 s0, 1, v2
	s_cbranch_vccnz .LBB66_53
; %bb.47:
	s_and_b32 vcc_lo, exec_lo, s0
	s_mov_b32 s0, -1
	s_cbranch_vccnz .LBB66_49
; %bb.48:
	v_lshl_add_u64 v[2:3], v[0:1], 2, v[8:9]
	v_mul_lo_u32 v10, v5, s26
	s_mov_b32 s0, 0
	global_load_b32 v4, v[2:3], off
	s_wait_loadcnt 0x0
	v_mad_u32 v4, v4, s27, v10
	global_store_b32 v[2:3], v4, off
.LBB66_49:
	s_and_not1_b32 vcc_lo, exec_lo, s0
	s_cbranch_vccnz .LBB66_51
; %bb.50:
	s_wait_xcnt 0x0
	v_mul_u64_e32 v[2:3], s[2:3], v[0:1]
	v_mul_lo_u32 v10, v5, s26
	s_delay_alu instid0(VALU_DEP_2)
	v_lshl_add_u64 v[2:3], v[2:3], 2, v[6:7]
	global_load_b32 v4, v[2:3], off
	s_wait_loadcnt 0x0
	v_mad_u32 v4, v4, s27, v10
	global_store_b32 v[2:3], v4, off
.LBB66_51:
	s_cbranch_execz .LBB66_54
.LBB66_52:
	s_endpgm
.LBB66_53:
.LBB66_54:
	s_wait_xcnt 0x0
	v_mul_lo_u32 v2, v5, s26
	s_and_not1_b32 vcc_lo, exec_lo, s1
	s_mov_b32 s0, -1
	s_cbranch_vccnz .LBB66_56
; %bb.55:
	v_lshl_add_u64 v[4:5], v[0:1], 2, v[8:9]
	s_mov_b32 s0, 0
	global_store_b32 v[4:5], v2, off
.LBB66_56:
	s_and_not1_b32 vcc_lo, exec_lo, s0
	s_cbranch_vccnz .LBB66_52
; %bb.57:
	v_mul_u64_e32 v[0:1], s[2:3], v[0:1]
	s_delay_alu instid0(VALU_DEP_1)
	v_lshl_add_u64 v[0:1], v[0:1], 2, v[6:7]
	global_store_b32 v[0:1], v2, off
	s_endpgm
	.section	.rodata,"a",@progbits
	.p2align	6, 0x0
	.amdhsa_kernel _ZN9rocsparseL31bsrmm_large_blockdim_kernel_extILj16ELj16ELj2EliaaiiEEvb20rocsparse_direction_T3_S2_llNS_24const_host_device_scalarIT7_EEPKT2_PKS2_PKT4_S2_PKT5_llS5_PT6_ll16rocsparse_order_21rocsparse_index_base_b
		.amdhsa_group_segment_fixed_size 3072
		.amdhsa_private_segment_fixed_size 0
		.amdhsa_kernarg_size 140
		.amdhsa_user_sgpr_count 2
		.amdhsa_user_sgpr_dispatch_ptr 0
		.amdhsa_user_sgpr_queue_ptr 0
		.amdhsa_user_sgpr_kernarg_segment_ptr 1
		.amdhsa_user_sgpr_dispatch_id 0
		.amdhsa_user_sgpr_kernarg_preload_length 0
		.amdhsa_user_sgpr_kernarg_preload_offset 0
		.amdhsa_user_sgpr_private_segment_size 0
		.amdhsa_wavefront_size32 1
		.amdhsa_uses_dynamic_stack 0
		.amdhsa_enable_private_segment 0
		.amdhsa_system_sgpr_workgroup_id_x 1
		.amdhsa_system_sgpr_workgroup_id_y 1
		.amdhsa_system_sgpr_workgroup_id_z 0
		.amdhsa_system_sgpr_workgroup_info 0
		.amdhsa_system_vgpr_workitem_id 1
		.amdhsa_next_free_vgpr 26
		.amdhsa_next_free_sgpr 29
		.amdhsa_named_barrier_count 0
		.amdhsa_reserve_vcc 1
		.amdhsa_float_round_mode_32 0
		.amdhsa_float_round_mode_16_64 0
		.amdhsa_float_denorm_mode_32 3
		.amdhsa_float_denorm_mode_16_64 3
		.amdhsa_fp16_overflow 0
		.amdhsa_memory_ordered 1
		.amdhsa_forward_progress 1
		.amdhsa_inst_pref_size 15
		.amdhsa_round_robin_scheduling 0
		.amdhsa_exception_fp_ieee_invalid_op 0
		.amdhsa_exception_fp_denorm_src 0
		.amdhsa_exception_fp_ieee_div_zero 0
		.amdhsa_exception_fp_ieee_overflow 0
		.amdhsa_exception_fp_ieee_underflow 0
		.amdhsa_exception_fp_ieee_inexact 0
		.amdhsa_exception_int_div_zero 0
	.end_amdhsa_kernel
	.section	.text._ZN9rocsparseL31bsrmm_large_blockdim_kernel_extILj16ELj16ELj2EliaaiiEEvb20rocsparse_direction_T3_S2_llNS_24const_host_device_scalarIT7_EEPKT2_PKS2_PKT4_S2_PKT5_llS5_PT6_ll16rocsparse_order_21rocsparse_index_base_b,"axG",@progbits,_ZN9rocsparseL31bsrmm_large_blockdim_kernel_extILj16ELj16ELj2EliaaiiEEvb20rocsparse_direction_T3_S2_llNS_24const_host_device_scalarIT7_EEPKT2_PKS2_PKT4_S2_PKT5_llS5_PT6_ll16rocsparse_order_21rocsparse_index_base_b,comdat
.Lfunc_end66:
	.size	_ZN9rocsparseL31bsrmm_large_blockdim_kernel_extILj16ELj16ELj2EliaaiiEEvb20rocsparse_direction_T3_S2_llNS_24const_host_device_scalarIT7_EEPKT2_PKS2_PKT4_S2_PKT5_llS5_PT6_ll16rocsparse_order_21rocsparse_index_base_b, .Lfunc_end66-_ZN9rocsparseL31bsrmm_large_blockdim_kernel_extILj16ELj16ELj2EliaaiiEEvb20rocsparse_direction_T3_S2_llNS_24const_host_device_scalarIT7_EEPKT2_PKS2_PKT4_S2_PKT5_llS5_PT6_ll16rocsparse_order_21rocsparse_index_base_b
                                        ; -- End function
	.set _ZN9rocsparseL31bsrmm_large_blockdim_kernel_extILj16ELj16ELj2EliaaiiEEvb20rocsparse_direction_T3_S2_llNS_24const_host_device_scalarIT7_EEPKT2_PKS2_PKT4_S2_PKT5_llS5_PT6_ll16rocsparse_order_21rocsparse_index_base_b.num_vgpr, 26
	.set _ZN9rocsparseL31bsrmm_large_blockdim_kernel_extILj16ELj16ELj2EliaaiiEEvb20rocsparse_direction_T3_S2_llNS_24const_host_device_scalarIT7_EEPKT2_PKS2_PKT4_S2_PKT5_llS5_PT6_ll16rocsparse_order_21rocsparse_index_base_b.num_agpr, 0
	.set _ZN9rocsparseL31bsrmm_large_blockdim_kernel_extILj16ELj16ELj2EliaaiiEEvb20rocsparse_direction_T3_S2_llNS_24const_host_device_scalarIT7_EEPKT2_PKS2_PKT4_S2_PKT5_llS5_PT6_ll16rocsparse_order_21rocsparse_index_base_b.numbered_sgpr, 29
	.set _ZN9rocsparseL31bsrmm_large_blockdim_kernel_extILj16ELj16ELj2EliaaiiEEvb20rocsparse_direction_T3_S2_llNS_24const_host_device_scalarIT7_EEPKT2_PKS2_PKT4_S2_PKT5_llS5_PT6_ll16rocsparse_order_21rocsparse_index_base_b.num_named_barrier, 0
	.set _ZN9rocsparseL31bsrmm_large_blockdim_kernel_extILj16ELj16ELj2EliaaiiEEvb20rocsparse_direction_T3_S2_llNS_24const_host_device_scalarIT7_EEPKT2_PKS2_PKT4_S2_PKT5_llS5_PT6_ll16rocsparse_order_21rocsparse_index_base_b.private_seg_size, 0
	.set _ZN9rocsparseL31bsrmm_large_blockdim_kernel_extILj16ELj16ELj2EliaaiiEEvb20rocsparse_direction_T3_S2_llNS_24const_host_device_scalarIT7_EEPKT2_PKS2_PKT4_S2_PKT5_llS5_PT6_ll16rocsparse_order_21rocsparse_index_base_b.uses_vcc, 1
	.set _ZN9rocsparseL31bsrmm_large_blockdim_kernel_extILj16ELj16ELj2EliaaiiEEvb20rocsparse_direction_T3_S2_llNS_24const_host_device_scalarIT7_EEPKT2_PKS2_PKT4_S2_PKT5_llS5_PT6_ll16rocsparse_order_21rocsparse_index_base_b.uses_flat_scratch, 0
	.set _ZN9rocsparseL31bsrmm_large_blockdim_kernel_extILj16ELj16ELj2EliaaiiEEvb20rocsparse_direction_T3_S2_llNS_24const_host_device_scalarIT7_EEPKT2_PKS2_PKT4_S2_PKT5_llS5_PT6_ll16rocsparse_order_21rocsparse_index_base_b.has_dyn_sized_stack, 0
	.set _ZN9rocsparseL31bsrmm_large_blockdim_kernel_extILj16ELj16ELj2EliaaiiEEvb20rocsparse_direction_T3_S2_llNS_24const_host_device_scalarIT7_EEPKT2_PKS2_PKT4_S2_PKT5_llS5_PT6_ll16rocsparse_order_21rocsparse_index_base_b.has_recursion, 0
	.set _ZN9rocsparseL31bsrmm_large_blockdim_kernel_extILj16ELj16ELj2EliaaiiEEvb20rocsparse_direction_T3_S2_llNS_24const_host_device_scalarIT7_EEPKT2_PKS2_PKT4_S2_PKT5_llS5_PT6_ll16rocsparse_order_21rocsparse_index_base_b.has_indirect_call, 0
	.section	.AMDGPU.csdata,"",@progbits
; Kernel info:
; codeLenInByte = 1816
; TotalNumSgprs: 31
; NumVgprs: 26
; ScratchSize: 0
; MemoryBound: 0
; FloatMode: 240
; IeeeMode: 1
; LDSByteSize: 3072 bytes/workgroup (compile time only)
; SGPRBlocks: 0
; VGPRBlocks: 1
; NumSGPRsForWavesPerEU: 31
; NumVGPRsForWavesPerEU: 26
; NamedBarCnt: 0
; Occupancy: 16
; WaveLimiterHint : 1
; COMPUTE_PGM_RSRC2:SCRATCH_EN: 0
; COMPUTE_PGM_RSRC2:USER_SGPR: 2
; COMPUTE_PGM_RSRC2:TRAP_HANDLER: 0
; COMPUTE_PGM_RSRC2:TGID_X_EN: 1
; COMPUTE_PGM_RSRC2:TGID_Y_EN: 1
; COMPUTE_PGM_RSRC2:TGID_Z_EN: 0
; COMPUTE_PGM_RSRC2:TIDIG_COMP_CNT: 1
	.section	.text._ZN9rocsparseL31bsrmm_large_blockdim_kernel_extILj32ELj32ELj2EliaaiiEEvb20rocsparse_direction_T3_S2_llNS_24const_host_device_scalarIT7_EEPKT2_PKS2_PKT4_S2_PKT5_llS5_PT6_ll16rocsparse_order_21rocsparse_index_base_b,"axG",@progbits,_ZN9rocsparseL31bsrmm_large_blockdim_kernel_extILj32ELj32ELj2EliaaiiEEvb20rocsparse_direction_T3_S2_llNS_24const_host_device_scalarIT7_EEPKT2_PKS2_PKT4_S2_PKT5_llS5_PT6_ll16rocsparse_order_21rocsparse_index_base_b,comdat
	.globl	_ZN9rocsparseL31bsrmm_large_blockdim_kernel_extILj32ELj32ELj2EliaaiiEEvb20rocsparse_direction_T3_S2_llNS_24const_host_device_scalarIT7_EEPKT2_PKS2_PKT4_S2_PKT5_llS5_PT6_ll16rocsparse_order_21rocsparse_index_base_b ; -- Begin function _ZN9rocsparseL31bsrmm_large_blockdim_kernel_extILj32ELj32ELj2EliaaiiEEvb20rocsparse_direction_T3_S2_llNS_24const_host_device_scalarIT7_EEPKT2_PKS2_PKT4_S2_PKT5_llS5_PT6_ll16rocsparse_order_21rocsparse_index_base_b
	.p2align	8
	.type	_ZN9rocsparseL31bsrmm_large_blockdim_kernel_extILj32ELj32ELj2EliaaiiEEvb20rocsparse_direction_T3_S2_llNS_24const_host_device_scalarIT7_EEPKT2_PKS2_PKT4_S2_PKT5_llS5_PT6_ll16rocsparse_order_21rocsparse_index_base_b,@function
_ZN9rocsparseL31bsrmm_large_blockdim_kernel_extILj32ELj32ELj2EliaaiiEEvb20rocsparse_direction_T3_S2_llNS_24const_host_device_scalarIT7_EEPKT2_PKS2_PKT4_S2_PKT5_llS5_PT6_ll16rocsparse_order_21rocsparse_index_base_b: ; @_ZN9rocsparseL31bsrmm_large_blockdim_kernel_extILj32ELj32ELj2EliaaiiEEvb20rocsparse_direction_T3_S2_llNS_24const_host_device_scalarIT7_EEPKT2_PKS2_PKT4_S2_PKT5_llS5_PT6_ll16rocsparse_order_21rocsparse_index_base_b
; %bb.0:
	s_clause 0x1
	s_load_b96 s[20:22], s[0:1], 0x80
	s_load_b64 s[4:5], s[0:1], 0x20
	s_mov_b32 s7, -1
                                        ; implicit-def: $sgpr26
	s_wait_kmcnt 0x0
	s_bitcmp1_b32 s22, 0
	s_cselect_b32 s2, -1, 0
	s_delay_alu instid0(SALU_CYCLE_1) | instskip(NEXT) | instid1(SALU_CYCLE_1)
	s_xor_b32 s6, s2, -1
	s_and_b32 vcc_lo, exec_lo, s6
	s_cbranch_vccnz .LBB67_4
; %bb.1:
	s_load_b64 s[2:3], s[0:1], 0x60
	s_and_not1_b32 vcc_lo, exec_lo, s7
	s_cbranch_vccz .LBB67_5
.LBB67_2:
	s_and_b32 vcc_lo, exec_lo, s6
	s_cbranch_vccz .LBB67_6
.LBB67_3:
	s_wait_kmcnt 0x0
	s_load_b32 s27, s[2:3], 0x0
	s_wait_xcnt 0x0
	s_cbranch_execz .LBB67_7
	s_branch .LBB67_8
.LBB67_4:
	s_load_b32 s26, s[4:5], 0x0
	s_load_b64 s[2:3], s[0:1], 0x60
	s_cbranch_execnz .LBB67_2
.LBB67_5:
	s_wait_kmcnt 0x0
	s_mov_b32 s26, s4
	s_and_b32 vcc_lo, exec_lo, s6
	s_cbranch_vccnz .LBB67_3
.LBB67_6:
	s_wait_kmcnt 0x0
                                        ; implicit-def: $sgpr27
.LBB67_7:
	s_wait_kmcnt 0x0
	s_mov_b32 s27, s2
.LBB67_8:
	s_cmp_eq_u32 s26, 0
	s_cselect_b32 s2, -1, 0
	s_wait_kmcnt 0x0
	s_cmp_eq_u32 s27, 1
	s_cselect_b32 s3, -1, 0
	s_delay_alu instid0(SALU_CYCLE_1) | instskip(NEXT) | instid1(SALU_CYCLE_1)
	s_and_b32 s2, s2, s3
	s_and_b32 vcc_lo, exec_lo, s2
	s_cbranch_vccnz .LBB67_52
; %bb.9:
	s_clause 0x1
	s_load_b128 s[8:11], s[0:1], 0x0
	s_load_b64 s[2:3], s[0:1], 0x28
	s_bfe_u32 s4, ttmp6, 0x4000c
	s_and_b32 s5, ttmp6, 15
	s_add_co_i32 s4, s4, 1
	s_mov_b64 s[22:23], 0
	s_mul_i32 s6, ttmp9, s4
	s_getreg_b32 s4, hwreg(HW_REG_IB_STS2, 6, 4)
	s_add_co_i32 s5, s5, s6
	s_cmp_eq_u32 s4, 0
	s_mov_b64 s[24:25], 0
	s_cselect_b32 s6, ttmp9, s5
	s_wait_kmcnt 0x0
	s_cmp_lt_i32 s6, s10
	s_cselect_b32 s28, -1, 0
	s_cmp_ge_i32 s6, s10
	s_cbranch_scc1 .LBB67_11
; %bb.10:
	s_ashr_i32 s7, s6, 31
	s_mov_b32 s15, 0
	s_lshl_b64 s[12:13], s[6:7], 3
	s_mov_b32 s14, s21
	s_add_nc_u64 s[12:13], s[2:3], s[12:13]
	s_load_b64 s[12:13], s[12:13], 0x0
	s_wait_kmcnt 0x0
	s_sub_nc_u64 s[24:25], s[12:13], s[14:15]
.LBB67_11:
	s_and_not1_b32 vcc_lo, exec_lo, s28
	s_cbranch_vccnz .LBB67_13
; %bb.12:
	s_ashr_i32 s7, s6, 31
	s_delay_alu instid0(SALU_CYCLE_1) | instskip(NEXT) | instid1(SALU_CYCLE_1)
	s_lshl_b64 s[12:13], s[6:7], 3
	s_add_nc_u64 s[2:3], s[2:3], s[12:13]
	s_mov_b32 s13, 0
	s_load_b64 s[2:3], s[2:3], 0x8
	s_mov_b32 s12, s21
	s_wait_kmcnt 0x0
	s_sub_nc_u64 s[22:23], s[2:3], s[12:13]
.LBB67_13:
	s_bfe_u32 s2, ttmp6, 0x40010
	s_load_b32 s7, s[0:1], 0x40
	s_add_co_i32 s2, s2, 1
	s_bfe_u32 s3, ttmp6, 0x40004
	s_mul_i32 s2, ttmp7, s2
	v_bfe_u32 v4, v0, 10, 10
	s_add_co_i32 s3, s3, s2
	s_cmp_eq_u32 s4, 0
	v_and_b32_e32 v6, 0x3ff, v0
	s_cselect_b32 s2, ttmp7, s3
	s_delay_alu instid0(SALU_CYCLE_1) | instskip(SKIP_1) | instid1(VALU_DEP_2)
	v_lshl_add_u32 v2, s2, 6, v4
	v_cmp_ge_i64_e64 s2, s[24:25], s[22:23]
	v_add_nc_u32_e32 v0, 32, v2
	v_cmp_gt_i32_e64 s3, s11, v2
	s_and_b32 vcc_lo, exec_lo, s2
	s_wait_kmcnt 0x0
	v_cmp_gt_i32_e64 s2, s7, v6
	v_cmp_gt_i32_e64 s4, s11, v0
	s_cbranch_vccnz .LBB67_31
; %bb.14:
	s_clause 0x1
	s_load_b128 s[12:15], s[0:1], 0x30
	s_load_b128 s[16:19], s[0:1], 0x48
	v_mul_lo_u32 v12, s7, v4
	v_dual_mov_b32 v13, 0 :: v_dual_ashrrev_i32 v3, 31, v2
	v_dual_ashrrev_i32 v1, 31, v0 :: v_dual_lshlrev_b32 v20, 2, v6
	v_cmp_gt_i32_e32 vcc_lo, s7, v4
	s_delay_alu instid0(VALU_DEP_3)
	v_dual_mov_b32 v7, v13 :: v_dual_mov_b32 v5, v13
	v_lshl_or_b32 v21, v4, 2, 0x2000
	v_dual_lshlrev_b32 v18, 7, v4 :: v_dual_lshlrev_b32 v22, 7, v6
	s_and_b32 s10, s2, vcc_lo
	s_bitcmp1_b32 s8, 0
	s_mul_i32 s8, s7, s7
	s_cselect_b32 s5, -1, 0
	s_cmp_eq_u32 s9, 0
	v_add_nc_u32_e32 v19, 0x1000, v18
	s_cselect_b32 vcc_lo, -1, 0
	s_wait_kmcnt 0x0
	v_add_nc_u64_e32 v[14:15], s[14:15], v[12:13]
	v_mul_lo_u32 v12, s7, v6
	v_mul_u64_e32 v[8:9], s[18:19], v[2:3]
	v_mul_u64_e32 v[10:11], s[18:19], v[0:1]
	v_add_nc_u32_e32 v21, v21, v22
	v_add_nc_u32_e32 v20, v20, v18
	v_add_nc_u64_e32 v[16:17], s[14:15], v[12:13]
	v_add_nc_u64_e32 v[12:13], v[14:15], v[6:7]
	s_delay_alu instid0(VALU_DEP_2) | instskip(NEXT) | instid1(VALU_DEP_1)
	v_add_nc_u64_e32 v[4:5], v[16:17], v[4:5]
	v_dual_cndmask_b32 v12, v12, v4 :: v_dual_add_nc_u32 v7, 0x2000, v22
	s_delay_alu instid0(VALU_DEP_2)
	v_cndmask_b32_e32 v13, v13, v5, vcc_lo
	v_mov_b64_e32 v[4:5], 0
	s_branch .LBB67_17
.LBB67_15:                              ;   in Loop: Header=BB67_17 Depth=1
	s_or_b32 exec_lo, exec_lo, s14
.LBB67_16:                              ;   in Loop: Header=BB67_17 Depth=1
	s_delay_alu instid0(SALU_CYCLE_1) | instskip(SKIP_1) | instid1(SALU_CYCLE_1)
	s_or_b32 exec_lo, exec_lo, s9
	s_add_nc_u64 s[24:25], s[24:25], 1
	v_cmp_ge_i64_e64 s9, s[24:25], s[22:23]
	s_barrier_signal -1
	s_barrier_wait -1
	s_and_b32 vcc_lo, exec_lo, s9
	s_cbranch_vccnz .LBB67_32
.LBB67_17:                              ; =>This Loop Header: Depth=1
                                        ;     Child Loop BB67_27 Depth 2
                                        ;     Child Loop BB67_30 Depth 2
	s_and_saveexec_b32 s9, s2
	s_cbranch_execz .LBB67_22
; %bb.18:                               ;   in Loop: Header=BB67_17 Depth=1
	s_lshl_b64 s[14:15], s[24:25], 2
	s_delay_alu instid0(SALU_CYCLE_1) | instskip(SKIP_3) | instid1(SALU_CYCLE_1)
	s_add_nc_u64 s[14:15], s[12:13], s[14:15]
	s_load_b32 s14, s[14:15], 0x0
	s_wait_kmcnt 0x0
	s_sub_co_i32 s14, s14, s21
	v_mad_u32 v16, s14, s7, v6
	s_delay_alu instid0(VALU_DEP_1) | instskip(SKIP_1) | instid1(VALU_DEP_2)
	v_mad_nc_u64_u32 v[14:15], s18, v16, s[16:17]
	v_ashrrev_i32_e32 v17, 31, v16
	v_mad_u32 v15, s19, v16, v15
	s_delay_alu instid0(VALU_DEP_1)
	v_mad_u32 v15, s18, v17, v15
	v_add_nc_u64_e32 v[16:17], s[16:17], v[16:17]
	s_and_saveexec_b32 s14, s3
	s_cbranch_execz .LBB67_20
; %bb.19:                               ;   in Loop: Header=BB67_17 Depth=1
	s_delay_alu instid0(VALU_DEP_2) | instskip(NEXT) | instid1(VALU_DEP_2)
	v_add_nc_u64_e32 v[22:23], v[14:15], v[2:3]
	v_add_nc_u64_e32 v[24:25], v[16:17], v[8:9]
	s_delay_alu instid0(VALU_DEP_1)
	v_dual_cndmask_b32 v23, v23, v25, s5 :: v_dual_cndmask_b32 v22, v22, v24, s5
	global_load_i8 v22, v[22:23], off
	s_wait_loadcnt 0x0
	ds_store_b32 v20, v22
.LBB67_20:                              ;   in Loop: Header=BB67_17 Depth=1
	s_or_b32 exec_lo, exec_lo, s14
	s_delay_alu instid0(SALU_CYCLE_1)
	s_and_b32 exec_lo, exec_lo, s4
	s_cbranch_execz .LBB67_22
; %bb.21:                               ;   in Loop: Header=BB67_17 Depth=1
	s_delay_alu instid0(VALU_DEP_1) | instskip(NEXT) | instid1(VALU_DEP_3)
	v_add_nc_u64_e32 v[16:17], v[16:17], v[10:11]
	v_add_nc_u64_e32 v[14:15], v[14:15], v[0:1]
	s_delay_alu instid0(VALU_DEP_1)
	v_dual_cndmask_b32 v15, v15, v17, s5 :: v_dual_cndmask_b32 v14, v14, v16, s5
	global_load_i8 v14, v[14:15], off
	s_wait_loadcnt 0x0
	ds_store_b32 v20, v14 offset:4096
.LBB67_22:                              ;   in Loop: Header=BB67_17 Depth=1
	s_or_b32 exec_lo, exec_lo, s9
	s_and_saveexec_b32 s9, s10
	s_cbranch_execz .LBB67_24
; %bb.23:                               ;   in Loop: Header=BB67_17 Depth=1
	v_mad_nc_u64_u32 v[14:15], s24, s8, v[12:13]
	s_delay_alu instid0(VALU_DEP_1)
	v_mad_u32 v15, s25, s8, v15
	global_load_i8 v14, v[14:15], off
	s_wait_loadcnt 0x0
	ds_store_b32 v21, v14
.LBB67_24:                              ;   in Loop: Header=BB67_17 Depth=1
	s_or_b32 exec_lo, exec_lo, s9
	s_wait_dscnt 0x0
	s_barrier_signal -1
	s_barrier_wait -1
	s_and_saveexec_b32 s9, s2
	s_cbranch_execz .LBB67_16
; %bb.25:                               ;   in Loop: Header=BB67_17 Depth=1
	s_and_saveexec_b32 s14, s3
	s_cbranch_execz .LBB67_28
; %bb.26:                               ;   in Loop: Header=BB67_17 Depth=1
	v_dual_mov_b32 v14, v7 :: v_dual_mov_b32 v15, v18
	s_mov_b32 s15, s7
.LBB67_27:                              ;   Parent Loop BB67_17 Depth=1
                                        ; =>  This Inner Loop Header: Depth=2
	ds_load_b32 v16, v14
	ds_load_b32 v17, v15
	v_dual_add_nc_u32 v15, 4, v15 :: v_dual_add_nc_u32 v14, 4, v14
	s_add_co_i32 s15, s15, -1
	s_delay_alu instid0(SALU_CYCLE_1)
	s_cmp_lg_u32 s15, 0
	s_wait_dscnt 0x0
	v_mad_u32 v4, v17, v16, v4
	s_cbranch_scc1 .LBB67_27
.LBB67_28:                              ;   in Loop: Header=BB67_17 Depth=1
	s_or_b32 exec_lo, exec_lo, s14
	s_and_saveexec_b32 s14, s4
	s_cbranch_execz .LBB67_15
; %bb.29:                               ;   in Loop: Header=BB67_17 Depth=1
	v_dual_mov_b32 v14, v7 :: v_dual_mov_b32 v15, v19
	s_mov_b32 s15, s7
.LBB67_30:                              ;   Parent Loop BB67_17 Depth=1
                                        ; =>  This Inner Loop Header: Depth=2
	ds_load_b32 v16, v14
	ds_load_b32 v17, v15
	v_dual_add_nc_u32 v15, 4, v15 :: v_dual_add_nc_u32 v14, 4, v14
	s_add_co_i32 s15, s15, -1
	s_delay_alu instid0(SALU_CYCLE_1)
	s_cmp_lg_u32 s15, 0
	s_wait_dscnt 0x0
	v_mad_u32 v5, v17, v16, v5
	s_cbranch_scc1 .LBB67_30
	s_branch .LBB67_15
.LBB67_31:
	v_mov_b64_e32 v[4:5], 0
.LBB67_32:
	s_load_b64 s[4:5], s[0:1], 0x68
	s_and_b32 s2, s28, s2
	s_delay_alu instid0(SALU_CYCLE_1)
	s_and_saveexec_b32 s3, s2
	s_cbranch_execz .LBB67_52
; %bb.33:
	s_load_b64 s[2:3], s[0:1], 0x70
	v_mad_u32 v6, s7, s6, v6
	s_cmp_lg_u32 s27, 0
	s_wait_xcnt 0x0
	s_mov_b32 s0, exec_lo
	s_cselect_b32 s6, -1, 0
	s_cmp_lg_u32 s20, 1
	s_cselect_b32 s1, -1, 0
	s_delay_alu instid0(VALU_DEP_1) | instskip(SKIP_1) | instid1(VALU_DEP_1)
	v_ashrrev_i32_e32 v7, 31, v6
	s_wait_kmcnt 0x0
	v_mul_u64_e32 v[8:9], s[2:3], v[6:7]
	v_lshl_add_u64 v[6:7], v[6:7], 2, s[4:5]
	s_delay_alu instid0(VALU_DEP_2)
	v_lshl_add_u64 v[8:9], v[8:9], 2, s[4:5]
	v_cmpx_gt_i32_e64 s11, v2
	s_cbranch_execz .LBB67_45
; %bb.34:
	v_ashrrev_i32_e32 v3, 31, v2
	s_and_b32 vcc_lo, exec_lo, s6
	s_cbranch_vccz .LBB67_40
; %bb.35:
	s_and_b32 vcc_lo, exec_lo, s1
	s_mov_b32 s4, -1
	s_cbranch_vccz .LBB67_37
; %bb.36:
	v_lshl_add_u64 v[10:11], v[2:3], 2, v[8:9]
	v_mul_lo_u32 v12, v4, s26
	s_mov_b32 s4, 0
	global_load_b32 v1, v[10:11], off
	s_wait_loadcnt 0x0
	v_mad_u32 v1, v1, s27, v12
	global_store_b32 v[10:11], v1, off
.LBB67_37:
	s_and_not1_b32 vcc_lo, exec_lo, s4
	s_cbranch_vccnz .LBB67_39
; %bb.38:
	s_wait_xcnt 0x0
	v_mul_u64_e32 v[10:11], s[2:3], v[2:3]
	v_mul_lo_u32 v12, v4, s26
	s_delay_alu instid0(VALU_DEP_2)
	v_lshl_add_u64 v[10:11], v[10:11], 2, v[6:7]
	global_load_b32 v1, v[10:11], off
	s_wait_loadcnt 0x0
	v_mad_u32 v1, v1, s27, v12
	global_store_b32 v[10:11], v1, off
.LBB67_39:
	s_cbranch_execz .LBB67_41
	s_branch .LBB67_45
.LBB67_40:
.LBB67_41:
	s_wait_xcnt 0x0
	v_mul_lo_u32 v1, v4, s26
	s_and_b32 vcc_lo, exec_lo, s1
	s_mov_b32 s4, -1
	s_cbranch_vccz .LBB67_43
; %bb.42:
	v_lshl_add_u64 v[10:11], v[2:3], 2, v[8:9]
	s_mov_b32 s4, 0
	global_store_b32 v[10:11], v1, off
.LBB67_43:
	s_and_not1_b32 vcc_lo, exec_lo, s4
	s_cbranch_vccnz .LBB67_45
; %bb.44:
	v_mul_u64_e32 v[2:3], s[2:3], v[2:3]
	s_delay_alu instid0(VALU_DEP_1)
	v_lshl_add_u64 v[2:3], v[2:3], 2, v[6:7]
	global_store_b32 v[2:3], v1, off
.LBB67_45:
	s_wait_xcnt 0x0
	s_or_b32 exec_lo, exec_lo, s0
	v_cmp_gt_i32_e32 vcc_lo, s11, v0
	s_and_b32 exec_lo, exec_lo, vcc_lo
	s_cbranch_execz .LBB67_52
; %bb.46:
	v_cndmask_b32_e64 v2, 0, 1, s1
	v_ashrrev_i32_e32 v1, 31, v0
	s_and_not1_b32 vcc_lo, exec_lo, s6
	s_delay_alu instid0(VALU_DEP_2)
	v_cmp_ne_u32_e64 s0, 1, v2
	s_cbranch_vccnz .LBB67_53
; %bb.47:
	s_and_b32 vcc_lo, exec_lo, s0
	s_mov_b32 s0, -1
	s_cbranch_vccnz .LBB67_49
; %bb.48:
	v_lshl_add_u64 v[2:3], v[0:1], 2, v[8:9]
	v_mul_lo_u32 v10, v5, s26
	s_mov_b32 s0, 0
	global_load_b32 v4, v[2:3], off
	s_wait_loadcnt 0x0
	v_mad_u32 v4, v4, s27, v10
	global_store_b32 v[2:3], v4, off
.LBB67_49:
	s_and_not1_b32 vcc_lo, exec_lo, s0
	s_cbranch_vccnz .LBB67_51
; %bb.50:
	s_wait_xcnt 0x0
	v_mul_u64_e32 v[2:3], s[2:3], v[0:1]
	v_mul_lo_u32 v10, v5, s26
	s_delay_alu instid0(VALU_DEP_2)
	v_lshl_add_u64 v[2:3], v[2:3], 2, v[6:7]
	global_load_b32 v4, v[2:3], off
	s_wait_loadcnt 0x0
	v_mad_u32 v4, v4, s27, v10
	global_store_b32 v[2:3], v4, off
.LBB67_51:
	s_cbranch_execz .LBB67_54
.LBB67_52:
	s_endpgm
.LBB67_53:
.LBB67_54:
	s_wait_xcnt 0x0
	v_mul_lo_u32 v2, v5, s26
	s_and_not1_b32 vcc_lo, exec_lo, s1
	s_mov_b32 s0, -1
	s_cbranch_vccnz .LBB67_56
; %bb.55:
	v_lshl_add_u64 v[4:5], v[0:1], 2, v[8:9]
	s_mov_b32 s0, 0
	global_store_b32 v[4:5], v2, off
.LBB67_56:
	s_and_not1_b32 vcc_lo, exec_lo, s0
	s_cbranch_vccnz .LBB67_52
; %bb.57:
	v_mul_u64_e32 v[0:1], s[2:3], v[0:1]
	s_delay_alu instid0(VALU_DEP_1)
	v_lshl_add_u64 v[0:1], v[0:1], 2, v[6:7]
	global_store_b32 v[0:1], v2, off
	s_endpgm
	.section	.rodata,"a",@progbits
	.p2align	6, 0x0
	.amdhsa_kernel _ZN9rocsparseL31bsrmm_large_blockdim_kernel_extILj32ELj32ELj2EliaaiiEEvb20rocsparse_direction_T3_S2_llNS_24const_host_device_scalarIT7_EEPKT2_PKS2_PKT4_S2_PKT5_llS5_PT6_ll16rocsparse_order_21rocsparse_index_base_b
		.amdhsa_group_segment_fixed_size 12288
		.amdhsa_private_segment_fixed_size 0
		.amdhsa_kernarg_size 140
		.amdhsa_user_sgpr_count 2
		.amdhsa_user_sgpr_dispatch_ptr 0
		.amdhsa_user_sgpr_queue_ptr 0
		.amdhsa_user_sgpr_kernarg_segment_ptr 1
		.amdhsa_user_sgpr_dispatch_id 0
		.amdhsa_user_sgpr_kernarg_preload_length 0
		.amdhsa_user_sgpr_kernarg_preload_offset 0
		.amdhsa_user_sgpr_private_segment_size 0
		.amdhsa_wavefront_size32 1
		.amdhsa_uses_dynamic_stack 0
		.amdhsa_enable_private_segment 0
		.amdhsa_system_sgpr_workgroup_id_x 1
		.amdhsa_system_sgpr_workgroup_id_y 1
		.amdhsa_system_sgpr_workgroup_id_z 0
		.amdhsa_system_sgpr_workgroup_info 0
		.amdhsa_system_vgpr_workitem_id 1
		.amdhsa_next_free_vgpr 26
		.amdhsa_next_free_sgpr 29
		.amdhsa_named_barrier_count 0
		.amdhsa_reserve_vcc 1
		.amdhsa_float_round_mode_32 0
		.amdhsa_float_round_mode_16_64 0
		.amdhsa_float_denorm_mode_32 3
		.amdhsa_float_denorm_mode_16_64 3
		.amdhsa_fp16_overflow 0
		.amdhsa_memory_ordered 1
		.amdhsa_forward_progress 1
		.amdhsa_inst_pref_size 15
		.amdhsa_round_robin_scheduling 0
		.amdhsa_exception_fp_ieee_invalid_op 0
		.amdhsa_exception_fp_denorm_src 0
		.amdhsa_exception_fp_ieee_div_zero 0
		.amdhsa_exception_fp_ieee_overflow 0
		.amdhsa_exception_fp_ieee_underflow 0
		.amdhsa_exception_fp_ieee_inexact 0
		.amdhsa_exception_int_div_zero 0
	.end_amdhsa_kernel
	.section	.text._ZN9rocsparseL31bsrmm_large_blockdim_kernel_extILj32ELj32ELj2EliaaiiEEvb20rocsparse_direction_T3_S2_llNS_24const_host_device_scalarIT7_EEPKT2_PKS2_PKT4_S2_PKT5_llS5_PT6_ll16rocsparse_order_21rocsparse_index_base_b,"axG",@progbits,_ZN9rocsparseL31bsrmm_large_blockdim_kernel_extILj32ELj32ELj2EliaaiiEEvb20rocsparse_direction_T3_S2_llNS_24const_host_device_scalarIT7_EEPKT2_PKS2_PKT4_S2_PKT5_llS5_PT6_ll16rocsparse_order_21rocsparse_index_base_b,comdat
.Lfunc_end67:
	.size	_ZN9rocsparseL31bsrmm_large_blockdim_kernel_extILj32ELj32ELj2EliaaiiEEvb20rocsparse_direction_T3_S2_llNS_24const_host_device_scalarIT7_EEPKT2_PKS2_PKT4_S2_PKT5_llS5_PT6_ll16rocsparse_order_21rocsparse_index_base_b, .Lfunc_end67-_ZN9rocsparseL31bsrmm_large_blockdim_kernel_extILj32ELj32ELj2EliaaiiEEvb20rocsparse_direction_T3_S2_llNS_24const_host_device_scalarIT7_EEPKT2_PKS2_PKT4_S2_PKT5_llS5_PT6_ll16rocsparse_order_21rocsparse_index_base_b
                                        ; -- End function
	.set _ZN9rocsparseL31bsrmm_large_blockdim_kernel_extILj32ELj32ELj2EliaaiiEEvb20rocsparse_direction_T3_S2_llNS_24const_host_device_scalarIT7_EEPKT2_PKS2_PKT4_S2_PKT5_llS5_PT6_ll16rocsparse_order_21rocsparse_index_base_b.num_vgpr, 26
	.set _ZN9rocsparseL31bsrmm_large_blockdim_kernel_extILj32ELj32ELj2EliaaiiEEvb20rocsparse_direction_T3_S2_llNS_24const_host_device_scalarIT7_EEPKT2_PKS2_PKT4_S2_PKT5_llS5_PT6_ll16rocsparse_order_21rocsparse_index_base_b.num_agpr, 0
	.set _ZN9rocsparseL31bsrmm_large_blockdim_kernel_extILj32ELj32ELj2EliaaiiEEvb20rocsparse_direction_T3_S2_llNS_24const_host_device_scalarIT7_EEPKT2_PKS2_PKT4_S2_PKT5_llS5_PT6_ll16rocsparse_order_21rocsparse_index_base_b.numbered_sgpr, 29
	.set _ZN9rocsparseL31bsrmm_large_blockdim_kernel_extILj32ELj32ELj2EliaaiiEEvb20rocsparse_direction_T3_S2_llNS_24const_host_device_scalarIT7_EEPKT2_PKS2_PKT4_S2_PKT5_llS5_PT6_ll16rocsparse_order_21rocsparse_index_base_b.num_named_barrier, 0
	.set _ZN9rocsparseL31bsrmm_large_blockdim_kernel_extILj32ELj32ELj2EliaaiiEEvb20rocsparse_direction_T3_S2_llNS_24const_host_device_scalarIT7_EEPKT2_PKS2_PKT4_S2_PKT5_llS5_PT6_ll16rocsparse_order_21rocsparse_index_base_b.private_seg_size, 0
	.set _ZN9rocsparseL31bsrmm_large_blockdim_kernel_extILj32ELj32ELj2EliaaiiEEvb20rocsparse_direction_T3_S2_llNS_24const_host_device_scalarIT7_EEPKT2_PKS2_PKT4_S2_PKT5_llS5_PT6_ll16rocsparse_order_21rocsparse_index_base_b.uses_vcc, 1
	.set _ZN9rocsparseL31bsrmm_large_blockdim_kernel_extILj32ELj32ELj2EliaaiiEEvb20rocsparse_direction_T3_S2_llNS_24const_host_device_scalarIT7_EEPKT2_PKS2_PKT4_S2_PKT5_llS5_PT6_ll16rocsparse_order_21rocsparse_index_base_b.uses_flat_scratch, 0
	.set _ZN9rocsparseL31bsrmm_large_blockdim_kernel_extILj32ELj32ELj2EliaaiiEEvb20rocsparse_direction_T3_S2_llNS_24const_host_device_scalarIT7_EEPKT2_PKS2_PKT4_S2_PKT5_llS5_PT6_ll16rocsparse_order_21rocsparse_index_base_b.has_dyn_sized_stack, 0
	.set _ZN9rocsparseL31bsrmm_large_blockdim_kernel_extILj32ELj32ELj2EliaaiiEEvb20rocsparse_direction_T3_S2_llNS_24const_host_device_scalarIT7_EEPKT2_PKS2_PKT4_S2_PKT5_llS5_PT6_ll16rocsparse_order_21rocsparse_index_base_b.has_recursion, 0
	.set _ZN9rocsparseL31bsrmm_large_blockdim_kernel_extILj32ELj32ELj2EliaaiiEEvb20rocsparse_direction_T3_S2_llNS_24const_host_device_scalarIT7_EEPKT2_PKS2_PKT4_S2_PKT5_llS5_PT6_ll16rocsparse_order_21rocsparse_index_base_b.has_indirect_call, 0
	.section	.AMDGPU.csdata,"",@progbits
; Kernel info:
; codeLenInByte = 1816
; TotalNumSgprs: 31
; NumVgprs: 26
; ScratchSize: 0
; MemoryBound: 0
; FloatMode: 240
; IeeeMode: 1
; LDSByteSize: 12288 bytes/workgroup (compile time only)
; SGPRBlocks: 0
; VGPRBlocks: 1
; NumSGPRsForWavesPerEU: 31
; NumVGPRsForWavesPerEU: 26
; NamedBarCnt: 0
; Occupancy: 16
; WaveLimiterHint : 1
; COMPUTE_PGM_RSRC2:SCRATCH_EN: 0
; COMPUTE_PGM_RSRC2:USER_SGPR: 2
; COMPUTE_PGM_RSRC2:TRAP_HANDLER: 0
; COMPUTE_PGM_RSRC2:TGID_X_EN: 1
; COMPUTE_PGM_RSRC2:TGID_Y_EN: 1
; COMPUTE_PGM_RSRC2:TGID_Z_EN: 0
; COMPUTE_PGM_RSRC2:TIDIG_COMP_CNT: 1
	.section	.text._ZN9rocsparseL31bsrmm_large_blockdim_kernel_extILj8ELj8ELj2EllaaiiEEvb20rocsparse_direction_T3_S2_llNS_24const_host_device_scalarIT7_EEPKT2_PKS2_PKT4_S2_PKT5_llS5_PT6_ll16rocsparse_order_21rocsparse_index_base_b,"axG",@progbits,_ZN9rocsparseL31bsrmm_large_blockdim_kernel_extILj8ELj8ELj2EllaaiiEEvb20rocsparse_direction_T3_S2_llNS_24const_host_device_scalarIT7_EEPKT2_PKS2_PKT4_S2_PKT5_llS5_PT6_ll16rocsparse_order_21rocsparse_index_base_b,comdat
	.globl	_ZN9rocsparseL31bsrmm_large_blockdim_kernel_extILj8ELj8ELj2EllaaiiEEvb20rocsparse_direction_T3_S2_llNS_24const_host_device_scalarIT7_EEPKT2_PKS2_PKT4_S2_PKT5_llS5_PT6_ll16rocsparse_order_21rocsparse_index_base_b ; -- Begin function _ZN9rocsparseL31bsrmm_large_blockdim_kernel_extILj8ELj8ELj2EllaaiiEEvb20rocsparse_direction_T3_S2_llNS_24const_host_device_scalarIT7_EEPKT2_PKS2_PKT4_S2_PKT5_llS5_PT6_ll16rocsparse_order_21rocsparse_index_base_b
	.p2align	8
	.type	_ZN9rocsparseL31bsrmm_large_blockdim_kernel_extILj8ELj8ELj2EllaaiiEEvb20rocsparse_direction_T3_S2_llNS_24const_host_device_scalarIT7_EEPKT2_PKS2_PKT4_S2_PKT5_llS5_PT6_ll16rocsparse_order_21rocsparse_index_base_b,@function
_ZN9rocsparseL31bsrmm_large_blockdim_kernel_extILj8ELj8ELj2EllaaiiEEvb20rocsparse_direction_T3_S2_llNS_24const_host_device_scalarIT7_EEPKT2_PKS2_PKT4_S2_PKT5_llS5_PT6_ll16rocsparse_order_21rocsparse_index_base_b: ; @_ZN9rocsparseL31bsrmm_large_blockdim_kernel_extILj8ELj8ELj2EllaaiiEEvb20rocsparse_direction_T3_S2_llNS_24const_host_device_scalarIT7_EEPKT2_PKS2_PKT4_S2_PKT5_llS5_PT6_ll16rocsparse_order_21rocsparse_index_base_b
; %bb.0:
	s_clause 0x1
	s_load_b96 s[16:18], s[0:1], 0x88
	s_load_b64 s[4:5], s[0:1], 0x28
	s_mov_b32 s7, -1
                                        ; implicit-def: $sgpr33
	s_wait_kmcnt 0x0
	s_bitcmp1_b32 s18, 0
	s_cselect_b32 s2, -1, 0
	s_delay_alu instid0(SALU_CYCLE_1) | instskip(NEXT) | instid1(SALU_CYCLE_1)
	s_xor_b32 s6, s2, -1
	s_and_b32 vcc_lo, exec_lo, s6
	s_cbranch_vccnz .LBB68_4
; %bb.1:
	s_load_b64 s[2:3], s[0:1], 0x68
	s_and_not1_b32 vcc_lo, exec_lo, s7
	s_cbranch_vccz .LBB68_5
.LBB68_2:
	s_and_b32 vcc_lo, exec_lo, s6
	s_cbranch_vccz .LBB68_6
.LBB68_3:
	s_wait_kmcnt 0x0
	s_load_b32 s34, s[2:3], 0x0
	s_wait_xcnt 0x0
	s_cbranch_execz .LBB68_7
	s_branch .LBB68_8
.LBB68_4:
	s_load_b32 s33, s[4:5], 0x0
	s_load_b64 s[2:3], s[0:1], 0x68
	s_cbranch_execnz .LBB68_2
.LBB68_5:
	s_wait_kmcnt 0x0
	s_mov_b32 s33, s4
	s_and_b32 vcc_lo, exec_lo, s6
	s_cbranch_vccnz .LBB68_3
.LBB68_6:
	s_wait_kmcnt 0x0
                                        ; implicit-def: $sgpr34
.LBB68_7:
	s_wait_kmcnt 0x0
	s_mov_b32 s34, s2
.LBB68_8:
	s_cmp_eq_u32 s33, 0
	s_cselect_b32 s2, -1, 0
	s_wait_kmcnt 0x0
	s_cmp_eq_u32 s34, 1
	s_cselect_b32 s3, -1, 0
	s_delay_alu instid0(SALU_CYCLE_1) | instskip(NEXT) | instid1(SALU_CYCLE_1)
	s_and_b32 s2, s2, s3
	s_and_b32 vcc_lo, exec_lo, s2
	s_cbranch_vccnz .LBB68_52
; %bb.9:
	s_clause 0x1
	s_load_b128 s[4:7], s[0:1], 0x8
	s_load_b64 s[2:3], s[0:1], 0x30
	s_bfe_u32 s8, ttmp6, 0x4000c
	s_and_b32 s9, ttmp6, 15
	s_add_co_i32 s8, s8, 1
	s_mov_b64 s[20:21], 0
	s_mul_i32 s10, ttmp9, s8
	s_getreg_b32 s8, hwreg(HW_REG_IB_STS2, 6, 4)
	s_add_co_i32 s9, s9, s10
	s_cmp_eq_u32 s8, 0
	s_mov_b64 s[22:23], 0
	s_cselect_b32 s18, ttmp9, s9
	s_delay_alu instid0(SALU_CYCLE_1)
	s_ashr_i32 s19, s18, 31
	s_wait_kmcnt 0x0
	v_cmp_le_i64_e64 s9, s[4:5], s[18:19]
	v_cmp_gt_i64_e64 s35, s[4:5], s[18:19]
	s_and_b32 vcc_lo, exec_lo, s9
	s_cbranch_vccnz .LBB68_11
; %bb.10:
	s_lshl_b64 s[4:5], s[18:19], 3
	s_mov_b32 s11, 0
	s_add_nc_u64 s[4:5], s[2:3], s[4:5]
	s_mov_b32 s10, s17
	s_load_b64 s[4:5], s[4:5], 0x0
	s_wait_kmcnt 0x0
	s_sub_nc_u64 s[22:23], s[4:5], s[10:11]
.LBB68_11:
	s_and_not1_b32 vcc_lo, exec_lo, s35
	s_cbranch_vccnz .LBB68_13
; %bb.12:
	s_lshl_b64 s[4:5], s[18:19], 3
	s_delay_alu instid0(SALU_CYCLE_1)
	s_add_nc_u64 s[2:3], s[2:3], s[4:5]
	s_mov_b32 s5, 0
	s_load_b64 s[2:3], s[2:3], 0x8
	s_mov_b32 s4, s17
	s_wait_kmcnt 0x0
	s_sub_nc_u64 s[20:21], s[2:3], s[4:5]
.LBB68_13:
	s_bfe_u32 s2, ttmp6, 0x40010
	s_clause 0x1
	s_load_b64 s[24:25], s[0:1], 0x48
	s_load_b64 s[26:27], s[0:1], 0x70
	s_add_co_i32 s2, s2, 1
	s_bfe_u32 s3, ttmp6, 0x40004
	s_mul_i32 s2, ttmp7, s2
	v_bfe_u32 v12, v0, 10, 10
	s_add_co_i32 s3, s3, s2
	s_cmp_eq_u32 s8, 0
	v_and_b32_e32 v6, 0x3ff, v0
	s_cselect_b32 s2, ttmp7, s3
	v_cmp_ge_i64_e64 s5, s[22:23], s[20:21]
	v_lshl_add_u32 v2, s2, 4, v12
	v_mov_b32_e32 v3, 0
	s_mov_b32 s29, 0
	s_delay_alu instid0(VALU_DEP_1)
	v_dual_mov_b32 v7, v3 :: v_dual_add_nc_u32 v0, 8, v2
	v_mov_b32_e32 v1, v3
	v_cmp_gt_i64_e64 s3, s[6:7], v[2:3]
	s_and_b32 vcc_lo, exec_lo, s5
	s_wait_kmcnt 0x0
	v_cmp_gt_i64_e64 s2, s[24:25], v[6:7]
	v_cmp_gt_i64_e64 s4, s[6:7], v[0:1]
	s_cbranch_vccnz .LBB68_31
; %bb.14:
	s_clause 0x2
	s_load_b128 s[8:11], s[0:1], 0x38
	s_load_b128 s[12:15], s[0:1], 0x50
	s_load_b64 s[30:31], s[0:1], 0x0
	v_dual_mov_b32 v13, v3 :: v_dual_lshlrev_b32 v19, 5, v6
	v_lshl_add_u32 v18, v12, 2, 0x200
	v_dual_lshlrev_b32 v20, 5, v12 :: v_dual_lshlrev_b32 v23, 2, v6
	s_delay_alu instid0(VALU_DEP_3) | instskip(SKIP_2) | instid1(VALU_DEP_4)
	v_cmp_gt_i64_e32 vcc_lo, s[24:25], v[12:13]
	v_cmp_gt_i64_e64 s36, s[24:25], 0
	v_mov_b64_e32 v[4:5], 0
	v_dual_add_nc_u32 v24, v18, v19 :: v_dual_add_nc_u32 v23, v23, v20
	s_mov_b32 s28, s17
	s_and_b32 s19, s2, vcc_lo
	s_wait_kmcnt 0x0
	v_mad_nc_u64_u32 v[14:15], s24, v12, s[10:11]
	v_mad_nc_u64_u32 v[16:17], s24, v6, s[10:11]
	v_mul_u64_e32 v[8:9], s[14:15], v[2:3]
	v_mul_u64_e32 v[10:11], s[14:15], v[0:1]
	s_bitcmp1_b32 s30, 0
	s_mul_u64 s[10:11], s[24:25], s[24:25]
	s_cselect_b32 s5, -1, 0
	s_cmp_eq_u32 s31, 0
	s_cselect_b32 vcc_lo, -1, 0
	s_and_b32 s17, s3, s36
	s_delay_alu instid0(VALU_DEP_4) | instskip(NEXT) | instid1(VALU_DEP_4)
	v_mad_u32 v15, s25, v12, v15
	v_mad_u32 v17, s25, v6, v17
	s_and_b32 s36, s4, s36
	s_delay_alu instid0(VALU_DEP_2) | instskip(NEXT) | instid1(VALU_DEP_2)
	v_add_nc_u64_e32 v[14:15], v[14:15], v[6:7]
	v_add_nc_u64_e32 v[16:17], v[16:17], v[12:13]
	;; [unrolled: 1-line block ×3, first 2 shown]
	v_add_nc_u32_e32 v21, 0x200, v19
	s_delay_alu instid0(VALU_DEP_3) | instskip(NEXT) | instid1(VALU_DEP_4)
	v_dual_cndmask_b32 v15, v15, v17 :: v_dual_add_nc_u32 v22, 0x100, v20
	v_cndmask_b32_e32 v14, v14, v16, vcc_lo
	s_branch .LBB68_17
.LBB68_15:                              ;   in Loop: Header=BB68_17 Depth=1
	s_or_b32 exec_lo, exec_lo, s38
.LBB68_16:                              ;   in Loop: Header=BB68_17 Depth=1
	s_delay_alu instid0(SALU_CYCLE_1) | instskip(SKIP_1) | instid1(SALU_CYCLE_1)
	s_or_b32 exec_lo, exec_lo, s37
	s_add_nc_u64 s[22:23], s[22:23], 1
	v_cmp_ge_i64_e64 s30, s[22:23], s[20:21]
	s_barrier_signal -1
	s_barrier_wait -1
	s_and_b32 vcc_lo, exec_lo, s30
	s_cbranch_vccnz .LBB68_32
.LBB68_17:                              ; =>This Loop Header: Depth=1
                                        ;     Child Loop BB68_27 Depth 2
                                        ;     Child Loop BB68_30 Depth 2
	s_and_saveexec_b32 s30, s2
	s_cbranch_execz .LBB68_22
; %bb.18:                               ;   in Loop: Header=BB68_17 Depth=1
	s_lshl_b64 s[38:39], s[22:23], 3
	s_delay_alu instid0(SALU_CYCLE_1) | instskip(SKIP_3) | instid1(SALU_CYCLE_1)
	s_add_nc_u64 s[38:39], s[8:9], s[38:39]
	s_load_b64 s[38:39], s[38:39], 0x0
	s_wait_kmcnt 0x0
	s_sub_nc_u64 s[38:39], s[38:39], s[28:29]
	v_mad_nc_u64_u32 v[26:27], s38, s24, v[6:7]
	s_mul_i32 s31, s39, s24
	s_mul_i32 s37, s38, s25
	s_delay_alu instid0(SALU_CYCLE_1) | instskip(NEXT) | instid1(VALU_DEP_1)
	s_add_co_i32 s37, s37, s31
	v_mad_nc_u64_u32 v[16:17], v26, s14, s[12:13]
	s_delay_alu instid0(VALU_DEP_2) | instskip(NEXT) | instid1(VALU_DEP_1)
	v_add_nc_u32_e32 v18, s37, v27
	v_mad_u32 v17, v18, s14, v17
	v_mad_nc_u64_u32 v[18:19], s38, s24, v[12:13]
	s_delay_alu instid0(VALU_DEP_2) | instskip(NEXT) | instid1(VALU_DEP_2)
	v_mad_u32 v17, v26, s15, v17
	v_add_nc_u32_e32 v19, s37, v19
	s_and_saveexec_b32 s31, s3
	s_cbranch_execz .LBB68_20
; %bb.19:                               ;   in Loop: Header=BB68_17 Depth=1
	s_delay_alu instid0(VALU_DEP_2) | instskip(NEXT) | instid1(VALU_DEP_2)
	v_add_nc_u64_e32 v[26:27], v[16:17], v[2:3]
	v_add_nc_u64_e32 v[28:29], v[18:19], v[8:9]
	s_delay_alu instid0(VALU_DEP_1)
	v_dual_cndmask_b32 v27, v27, v29, s5 :: v_dual_cndmask_b32 v26, v26, v28, s5
	global_load_i8 v25, v[26:27], off
	s_wait_loadcnt 0x0
	ds_store_b32 v23, v25
.LBB68_20:                              ;   in Loop: Header=BB68_17 Depth=1
	s_or_b32 exec_lo, exec_lo, s31
	s_delay_alu instid0(SALU_CYCLE_1)
	s_and_b32 exec_lo, exec_lo, s4
	s_cbranch_execz .LBB68_22
; %bb.21:                               ;   in Loop: Header=BB68_17 Depth=1
	s_delay_alu instid0(VALU_DEP_3) | instskip(NEXT) | instid1(VALU_DEP_3)
	v_add_nc_u64_e32 v[18:19], v[18:19], v[10:11]
	v_add_nc_u64_e32 v[16:17], v[16:17], v[0:1]
	s_delay_alu instid0(VALU_DEP_1)
	v_dual_cndmask_b32 v17, v17, v19, s5 :: v_dual_cndmask_b32 v16, v16, v18, s5
	global_load_i8 v16, v[16:17], off
	s_wait_loadcnt 0x0
	ds_store_b32 v23, v16 offset:256
.LBB68_22:                              ;   in Loop: Header=BB68_17 Depth=1
	s_or_b32 exec_lo, exec_lo, s30
	s_and_saveexec_b32 s30, s19
	s_cbranch_execz .LBB68_24
; %bb.23:                               ;   in Loop: Header=BB68_17 Depth=1
	v_mad_nc_u64_u32 v[16:17], s10, s22, v[14:15]
	s_mul_i32 s31, s11, s22
	s_mul_i32 s37, s10, s23
	s_delay_alu instid0(VALU_DEP_1) | instid1(SALU_CYCLE_1)
	v_add3_u32 v17, s37, s31, v17
	global_load_i8 v16, v[16:17], off
	s_wait_loadcnt 0x0
	ds_store_b32 v24, v16
.LBB68_24:                              ;   in Loop: Header=BB68_17 Depth=1
	s_or_b32 exec_lo, exec_lo, s30
	s_wait_dscnt 0x0
	s_barrier_signal -1
	s_barrier_wait -1
	s_and_saveexec_b32 s37, s2
	s_cbranch_execz .LBB68_16
; %bb.25:                               ;   in Loop: Header=BB68_17 Depth=1
	s_and_saveexec_b32 s38, s17
	s_cbranch_execz .LBB68_28
; %bb.26:                               ;   in Loop: Header=BB68_17 Depth=1
	v_dual_mov_b32 v16, v21 :: v_dual_mov_b32 v17, v20
	s_mov_b64 s[30:31], s[24:25]
.LBB68_27:                              ;   Parent Loop BB68_17 Depth=1
                                        ; =>  This Inner Loop Header: Depth=2
	ds_load_b32 v18, v16
	ds_load_b32 v19, v17
	v_dual_add_nc_u32 v17, 4, v17 :: v_dual_add_nc_u32 v16, 4, v16
	s_add_nc_u64 s[30:31], s[30:31], -1
	s_delay_alu instid0(SALU_CYCLE_1)
	s_cmp_lg_u64 s[30:31], 0
	s_wait_dscnt 0x0
	v_mad_u32 v4, v19, v18, v4
	s_cbranch_scc1 .LBB68_27
.LBB68_28:                              ;   in Loop: Header=BB68_17 Depth=1
	s_or_b32 exec_lo, exec_lo, s38
	s_and_saveexec_b32 s38, s36
	s_cbranch_execz .LBB68_15
; %bb.29:                               ;   in Loop: Header=BB68_17 Depth=1
	v_dual_mov_b32 v16, v21 :: v_dual_mov_b32 v17, v22
	s_mov_b64 s[30:31], s[24:25]
.LBB68_30:                              ;   Parent Loop BB68_17 Depth=1
                                        ; =>  This Inner Loop Header: Depth=2
	ds_load_b32 v18, v16
	ds_load_b32 v19, v17
	v_dual_add_nc_u32 v17, 4, v17 :: v_dual_add_nc_u32 v16, 4, v16
	s_add_nc_u64 s[30:31], s[30:31], -1
	s_delay_alu instid0(SALU_CYCLE_1)
	s_cmp_lg_u64 s[30:31], 0
	s_wait_dscnt 0x0
	v_mad_u32 v5, v19, v18, v5
	s_cbranch_scc1 .LBB68_30
	s_branch .LBB68_15
.LBB68_31:
	v_mov_b64_e32 v[4:5], 0
.LBB68_32:
	s_and_b32 s2, s35, s2
	s_delay_alu instid0(SALU_CYCLE_1)
	s_and_saveexec_b32 s3, s2
	s_cbranch_execz .LBB68_52
; %bb.33:
	v_mad_nc_u64_u32 v[6:7], s24, s18, v[6:7]
	s_load_b64 s[2:3], s[0:1], 0x78
	s_cmp_lg_u32 s34, 0
	s_wait_xcnt 0x0
	s_mov_b32 s0, exec_lo
	s_cselect_b32 s4, -1, 0
	s_cmp_lg_u32 s16, 1
	s_cselect_b32 s1, -1, 0
	s_delay_alu instid0(VALU_DEP_1) | instskip(SKIP_1) | instid1(VALU_DEP_1)
	v_mad_u32 v7, s25, s18, v7
	s_wait_kmcnt 0x0
	v_mul_u64_e32 v[8:9], s[2:3], v[6:7]
	v_lshl_add_u64 v[6:7], v[6:7], 2, s[26:27]
	s_delay_alu instid0(VALU_DEP_2)
	v_lshl_add_u64 v[8:9], v[8:9], 2, s[26:27]
	v_cmpx_gt_i64_e64 s[6:7], v[2:3]
	s_cbranch_execz .LBB68_45
; %bb.34:
	s_and_b32 vcc_lo, exec_lo, s4
	s_cbranch_vccz .LBB68_40
; %bb.35:
	s_and_b32 vcc_lo, exec_lo, s1
	s_mov_b32 s5, -1
	s_cbranch_vccz .LBB68_37
; %bb.36:
	v_lshl_add_u64 v[10:11], v[2:3], 2, v[8:9]
	v_mul_lo_u32 v13, v4, s33
	s_mov_b32 s5, 0
	global_load_b32 v12, v[10:11], off
	s_wait_loadcnt 0x0
	v_mad_u32 v12, v12, s34, v13
	global_store_b32 v[10:11], v12, off
.LBB68_37:
	s_and_not1_b32 vcc_lo, exec_lo, s5
	s_cbranch_vccnz .LBB68_39
; %bb.38:
	s_wait_xcnt 0x0
	v_mul_u64_e32 v[10:11], s[2:3], v[2:3]
	v_mul_lo_u32 v13, v4, s33
	s_delay_alu instid0(VALU_DEP_2)
	v_lshl_add_u64 v[10:11], v[10:11], 2, v[6:7]
	global_load_b32 v12, v[10:11], off
	s_wait_loadcnt 0x0
	v_mad_u32 v12, v12, s34, v13
	global_store_b32 v[10:11], v12, off
.LBB68_39:
	s_cbranch_execz .LBB68_41
	s_branch .LBB68_45
.LBB68_40:
.LBB68_41:
	v_mul_lo_u32 v4, v4, s33
	s_and_b32 vcc_lo, exec_lo, s1
	s_mov_b32 s5, -1
	s_cbranch_vccz .LBB68_43
; %bb.42:
	s_wait_xcnt 0x0
	v_lshl_add_u64 v[10:11], v[2:3], 2, v[8:9]
	s_mov_b32 s5, 0
	global_store_b32 v[10:11], v4, off
.LBB68_43:
	s_and_not1_b32 vcc_lo, exec_lo, s5
	s_cbranch_vccnz .LBB68_45
; %bb.44:
	v_mul_u64_e32 v[2:3], s[2:3], v[2:3]
	s_delay_alu instid0(VALU_DEP_1)
	v_lshl_add_u64 v[2:3], v[2:3], 2, v[6:7]
	global_store_b32 v[2:3], v4, off
.LBB68_45:
	s_wait_xcnt 0x0
	s_or_b32 exec_lo, exec_lo, s0
	v_cmp_gt_i64_e32 vcc_lo, s[6:7], v[0:1]
	s_and_b32 exec_lo, exec_lo, vcc_lo
	s_cbranch_execz .LBB68_52
; %bb.46:
	v_cndmask_b32_e64 v2, 0, 1, s1
	s_and_not1_b32 vcc_lo, exec_lo, s4
	s_delay_alu instid0(VALU_DEP_1)
	v_cmp_ne_u32_e64 s0, 1, v2
	s_cbranch_vccnz .LBB68_53
; %bb.47:
	s_and_b32 vcc_lo, exec_lo, s0
	s_mov_b32 s0, -1
	s_cbranch_vccnz .LBB68_49
; %bb.48:
	v_lshl_add_u64 v[2:3], v[0:1], 2, v[8:9]
	v_mul_lo_u32 v10, v5, s33
	s_mov_b32 s0, 0
	global_load_b32 v4, v[2:3], off
	s_wait_loadcnt 0x0
	v_mad_u32 v4, v4, s34, v10
	global_store_b32 v[2:3], v4, off
.LBB68_49:
	s_and_not1_b32 vcc_lo, exec_lo, s0
	s_cbranch_vccnz .LBB68_51
; %bb.50:
	s_wait_xcnt 0x0
	v_mul_u64_e32 v[2:3], s[2:3], v[0:1]
	v_mul_lo_u32 v10, v5, s33
	s_delay_alu instid0(VALU_DEP_2)
	v_lshl_add_u64 v[2:3], v[2:3], 2, v[6:7]
	global_load_b32 v4, v[2:3], off
	s_wait_loadcnt 0x0
	v_mad_u32 v4, v4, s34, v10
	global_store_b32 v[2:3], v4, off
.LBB68_51:
	s_cbranch_execz .LBB68_54
.LBB68_52:
	s_endpgm
.LBB68_53:
.LBB68_54:
	s_wait_xcnt 0x0
	v_mul_lo_u32 v2, v5, s33
	s_and_not1_b32 vcc_lo, exec_lo, s1
	s_mov_b32 s0, -1
	s_cbranch_vccnz .LBB68_56
; %bb.55:
	v_lshl_add_u64 v[4:5], v[0:1], 2, v[8:9]
	s_mov_b32 s0, 0
	global_store_b32 v[4:5], v2, off
.LBB68_56:
	s_and_not1_b32 vcc_lo, exec_lo, s0
	s_cbranch_vccnz .LBB68_52
; %bb.57:
	v_mul_u64_e32 v[0:1], s[2:3], v[0:1]
	s_delay_alu instid0(VALU_DEP_1)
	v_lshl_add_u64 v[0:1], v[0:1], 2, v[6:7]
	global_store_b32 v[0:1], v2, off
	s_endpgm
	.section	.rodata,"a",@progbits
	.p2align	6, 0x0
	.amdhsa_kernel _ZN9rocsparseL31bsrmm_large_blockdim_kernel_extILj8ELj8ELj2EllaaiiEEvb20rocsparse_direction_T3_S2_llNS_24const_host_device_scalarIT7_EEPKT2_PKS2_PKT4_S2_PKT5_llS5_PT6_ll16rocsparse_order_21rocsparse_index_base_b
		.amdhsa_group_segment_fixed_size 768
		.amdhsa_private_segment_fixed_size 0
		.amdhsa_kernarg_size 148
		.amdhsa_user_sgpr_count 2
		.amdhsa_user_sgpr_dispatch_ptr 0
		.amdhsa_user_sgpr_queue_ptr 0
		.amdhsa_user_sgpr_kernarg_segment_ptr 1
		.amdhsa_user_sgpr_dispatch_id 0
		.amdhsa_user_sgpr_kernarg_preload_length 0
		.amdhsa_user_sgpr_kernarg_preload_offset 0
		.amdhsa_user_sgpr_private_segment_size 0
		.amdhsa_wavefront_size32 1
		.amdhsa_uses_dynamic_stack 0
		.amdhsa_enable_private_segment 0
		.amdhsa_system_sgpr_workgroup_id_x 1
		.amdhsa_system_sgpr_workgroup_id_y 1
		.amdhsa_system_sgpr_workgroup_id_z 0
		.amdhsa_system_sgpr_workgroup_info 0
		.amdhsa_system_vgpr_workitem_id 1
		.amdhsa_next_free_vgpr 30
		.amdhsa_next_free_sgpr 40
		.amdhsa_named_barrier_count 0
		.amdhsa_reserve_vcc 1
		.amdhsa_float_round_mode_32 0
		.amdhsa_float_round_mode_16_64 0
		.amdhsa_float_denorm_mode_32 3
		.amdhsa_float_denorm_mode_16_64 3
		.amdhsa_fp16_overflow 0
		.amdhsa_memory_ordered 1
		.amdhsa_forward_progress 1
		.amdhsa_inst_pref_size 15
		.amdhsa_round_robin_scheduling 0
		.amdhsa_exception_fp_ieee_invalid_op 0
		.amdhsa_exception_fp_denorm_src 0
		.amdhsa_exception_fp_ieee_div_zero 0
		.amdhsa_exception_fp_ieee_overflow 0
		.amdhsa_exception_fp_ieee_underflow 0
		.amdhsa_exception_fp_ieee_inexact 0
		.amdhsa_exception_int_div_zero 0
	.end_amdhsa_kernel
	.section	.text._ZN9rocsparseL31bsrmm_large_blockdim_kernel_extILj8ELj8ELj2EllaaiiEEvb20rocsparse_direction_T3_S2_llNS_24const_host_device_scalarIT7_EEPKT2_PKS2_PKT4_S2_PKT5_llS5_PT6_ll16rocsparse_order_21rocsparse_index_base_b,"axG",@progbits,_ZN9rocsparseL31bsrmm_large_blockdim_kernel_extILj8ELj8ELj2EllaaiiEEvb20rocsparse_direction_T3_S2_llNS_24const_host_device_scalarIT7_EEPKT2_PKS2_PKT4_S2_PKT5_llS5_PT6_ll16rocsparse_order_21rocsparse_index_base_b,comdat
.Lfunc_end68:
	.size	_ZN9rocsparseL31bsrmm_large_blockdim_kernel_extILj8ELj8ELj2EllaaiiEEvb20rocsparse_direction_T3_S2_llNS_24const_host_device_scalarIT7_EEPKT2_PKS2_PKT4_S2_PKT5_llS5_PT6_ll16rocsparse_order_21rocsparse_index_base_b, .Lfunc_end68-_ZN9rocsparseL31bsrmm_large_blockdim_kernel_extILj8ELj8ELj2EllaaiiEEvb20rocsparse_direction_T3_S2_llNS_24const_host_device_scalarIT7_EEPKT2_PKS2_PKT4_S2_PKT5_llS5_PT6_ll16rocsparse_order_21rocsparse_index_base_b
                                        ; -- End function
	.set _ZN9rocsparseL31bsrmm_large_blockdim_kernel_extILj8ELj8ELj2EllaaiiEEvb20rocsparse_direction_T3_S2_llNS_24const_host_device_scalarIT7_EEPKT2_PKS2_PKT4_S2_PKT5_llS5_PT6_ll16rocsparse_order_21rocsparse_index_base_b.num_vgpr, 30
	.set _ZN9rocsparseL31bsrmm_large_blockdim_kernel_extILj8ELj8ELj2EllaaiiEEvb20rocsparse_direction_T3_S2_llNS_24const_host_device_scalarIT7_EEPKT2_PKS2_PKT4_S2_PKT5_llS5_PT6_ll16rocsparse_order_21rocsparse_index_base_b.num_agpr, 0
	.set _ZN9rocsparseL31bsrmm_large_blockdim_kernel_extILj8ELj8ELj2EllaaiiEEvb20rocsparse_direction_T3_S2_llNS_24const_host_device_scalarIT7_EEPKT2_PKS2_PKT4_S2_PKT5_llS5_PT6_ll16rocsparse_order_21rocsparse_index_base_b.numbered_sgpr, 40
	.set _ZN9rocsparseL31bsrmm_large_blockdim_kernel_extILj8ELj8ELj2EllaaiiEEvb20rocsparse_direction_T3_S2_llNS_24const_host_device_scalarIT7_EEPKT2_PKS2_PKT4_S2_PKT5_llS5_PT6_ll16rocsparse_order_21rocsparse_index_base_b.num_named_barrier, 0
	.set _ZN9rocsparseL31bsrmm_large_blockdim_kernel_extILj8ELj8ELj2EllaaiiEEvb20rocsparse_direction_T3_S2_llNS_24const_host_device_scalarIT7_EEPKT2_PKS2_PKT4_S2_PKT5_llS5_PT6_ll16rocsparse_order_21rocsparse_index_base_b.private_seg_size, 0
	.set _ZN9rocsparseL31bsrmm_large_blockdim_kernel_extILj8ELj8ELj2EllaaiiEEvb20rocsparse_direction_T3_S2_llNS_24const_host_device_scalarIT7_EEPKT2_PKS2_PKT4_S2_PKT5_llS5_PT6_ll16rocsparse_order_21rocsparse_index_base_b.uses_vcc, 1
	.set _ZN9rocsparseL31bsrmm_large_blockdim_kernel_extILj8ELj8ELj2EllaaiiEEvb20rocsparse_direction_T3_S2_llNS_24const_host_device_scalarIT7_EEPKT2_PKS2_PKT4_S2_PKT5_llS5_PT6_ll16rocsparse_order_21rocsparse_index_base_b.uses_flat_scratch, 0
	.set _ZN9rocsparseL31bsrmm_large_blockdim_kernel_extILj8ELj8ELj2EllaaiiEEvb20rocsparse_direction_T3_S2_llNS_24const_host_device_scalarIT7_EEPKT2_PKS2_PKT4_S2_PKT5_llS5_PT6_ll16rocsparse_order_21rocsparse_index_base_b.has_dyn_sized_stack, 0
	.set _ZN9rocsparseL31bsrmm_large_blockdim_kernel_extILj8ELj8ELj2EllaaiiEEvb20rocsparse_direction_T3_S2_llNS_24const_host_device_scalarIT7_EEPKT2_PKS2_PKT4_S2_PKT5_llS5_PT6_ll16rocsparse_order_21rocsparse_index_base_b.has_recursion, 0
	.set _ZN9rocsparseL31bsrmm_large_blockdim_kernel_extILj8ELj8ELj2EllaaiiEEvb20rocsparse_direction_T3_S2_llNS_24const_host_device_scalarIT7_EEPKT2_PKS2_PKT4_S2_PKT5_llS5_PT6_ll16rocsparse_order_21rocsparse_index_base_b.has_indirect_call, 0
	.section	.AMDGPU.csdata,"",@progbits
; Kernel info:
; codeLenInByte = 1896
; TotalNumSgprs: 42
; NumVgprs: 30
; ScratchSize: 0
; MemoryBound: 0
; FloatMode: 240
; IeeeMode: 1
; LDSByteSize: 768 bytes/workgroup (compile time only)
; SGPRBlocks: 0
; VGPRBlocks: 1
; NumSGPRsForWavesPerEU: 42
; NumVGPRsForWavesPerEU: 30
; NamedBarCnt: 0
; Occupancy: 16
; WaveLimiterHint : 1
; COMPUTE_PGM_RSRC2:SCRATCH_EN: 0
; COMPUTE_PGM_RSRC2:USER_SGPR: 2
; COMPUTE_PGM_RSRC2:TRAP_HANDLER: 0
; COMPUTE_PGM_RSRC2:TGID_X_EN: 1
; COMPUTE_PGM_RSRC2:TGID_Y_EN: 1
; COMPUTE_PGM_RSRC2:TGID_Z_EN: 0
; COMPUTE_PGM_RSRC2:TIDIG_COMP_CNT: 1
	.section	.text._ZN9rocsparseL31bsrmm_large_blockdim_kernel_extILj4ELj16ELj2EllaaiiEEvb20rocsparse_direction_T3_S2_llNS_24const_host_device_scalarIT7_EEPKT2_PKS2_PKT4_S2_PKT5_llS5_PT6_ll16rocsparse_order_21rocsparse_index_base_b,"axG",@progbits,_ZN9rocsparseL31bsrmm_large_blockdim_kernel_extILj4ELj16ELj2EllaaiiEEvb20rocsparse_direction_T3_S2_llNS_24const_host_device_scalarIT7_EEPKT2_PKS2_PKT4_S2_PKT5_llS5_PT6_ll16rocsparse_order_21rocsparse_index_base_b,comdat
	.globl	_ZN9rocsparseL31bsrmm_large_blockdim_kernel_extILj4ELj16ELj2EllaaiiEEvb20rocsparse_direction_T3_S2_llNS_24const_host_device_scalarIT7_EEPKT2_PKS2_PKT4_S2_PKT5_llS5_PT6_ll16rocsparse_order_21rocsparse_index_base_b ; -- Begin function _ZN9rocsparseL31bsrmm_large_blockdim_kernel_extILj4ELj16ELj2EllaaiiEEvb20rocsparse_direction_T3_S2_llNS_24const_host_device_scalarIT7_EEPKT2_PKS2_PKT4_S2_PKT5_llS5_PT6_ll16rocsparse_order_21rocsparse_index_base_b
	.p2align	8
	.type	_ZN9rocsparseL31bsrmm_large_blockdim_kernel_extILj4ELj16ELj2EllaaiiEEvb20rocsparse_direction_T3_S2_llNS_24const_host_device_scalarIT7_EEPKT2_PKS2_PKT4_S2_PKT5_llS5_PT6_ll16rocsparse_order_21rocsparse_index_base_b,@function
_ZN9rocsparseL31bsrmm_large_blockdim_kernel_extILj4ELj16ELj2EllaaiiEEvb20rocsparse_direction_T3_S2_llNS_24const_host_device_scalarIT7_EEPKT2_PKS2_PKT4_S2_PKT5_llS5_PT6_ll16rocsparse_order_21rocsparse_index_base_b: ; @_ZN9rocsparseL31bsrmm_large_blockdim_kernel_extILj4ELj16ELj2EllaaiiEEvb20rocsparse_direction_T3_S2_llNS_24const_host_device_scalarIT7_EEPKT2_PKS2_PKT4_S2_PKT5_llS5_PT6_ll16rocsparse_order_21rocsparse_index_base_b
; %bb.0:
	s_clause 0x1
	s_load_b96 s[16:18], s[0:1], 0x88
	s_load_b64 s[4:5], s[0:1], 0x28
	s_mov_b32 s7, -1
                                        ; implicit-def: $sgpr33
	s_wait_kmcnt 0x0
	s_bitcmp1_b32 s18, 0
	s_cselect_b32 s2, -1, 0
	s_delay_alu instid0(SALU_CYCLE_1) | instskip(NEXT) | instid1(SALU_CYCLE_1)
	s_xor_b32 s6, s2, -1
	s_and_b32 vcc_lo, exec_lo, s6
	s_cbranch_vccnz .LBB69_4
; %bb.1:
	s_load_b64 s[2:3], s[0:1], 0x68
	s_and_not1_b32 vcc_lo, exec_lo, s7
	s_cbranch_vccz .LBB69_5
.LBB69_2:
	s_and_b32 vcc_lo, exec_lo, s6
	s_cbranch_vccz .LBB69_6
.LBB69_3:
	s_wait_kmcnt 0x0
	s_load_b32 s34, s[2:3], 0x0
	s_wait_xcnt 0x0
	s_cbranch_execz .LBB69_7
	s_branch .LBB69_8
.LBB69_4:
	s_load_b32 s33, s[4:5], 0x0
	s_load_b64 s[2:3], s[0:1], 0x68
	s_cbranch_execnz .LBB69_2
.LBB69_5:
	s_wait_kmcnt 0x0
	s_mov_b32 s33, s4
	s_and_b32 vcc_lo, exec_lo, s6
	s_cbranch_vccnz .LBB69_3
.LBB69_6:
	s_wait_kmcnt 0x0
                                        ; implicit-def: $sgpr34
.LBB69_7:
	s_wait_kmcnt 0x0
	s_mov_b32 s34, s2
.LBB69_8:
	s_cmp_eq_u32 s33, 0
	s_cselect_b32 s2, -1, 0
	s_wait_kmcnt 0x0
	s_cmp_eq_u32 s34, 1
	s_cselect_b32 s3, -1, 0
	s_delay_alu instid0(SALU_CYCLE_1) | instskip(NEXT) | instid1(SALU_CYCLE_1)
	s_and_b32 s2, s2, s3
	s_and_b32 vcc_lo, exec_lo, s2
	s_cbranch_vccnz .LBB69_52
; %bb.9:
	s_clause 0x1
	s_load_b128 s[4:7], s[0:1], 0x8
	s_load_b64 s[2:3], s[0:1], 0x30
	s_bfe_u32 s8, ttmp6, 0x4000c
	s_and_b32 s9, ttmp6, 15
	s_add_co_i32 s8, s8, 1
	s_mov_b64 s[20:21], 0
	s_mul_i32 s10, ttmp9, s8
	s_getreg_b32 s8, hwreg(HW_REG_IB_STS2, 6, 4)
	s_add_co_i32 s9, s9, s10
	s_cmp_eq_u32 s8, 0
	s_mov_b64 s[22:23], 0
	s_cselect_b32 s18, ttmp9, s9
	s_delay_alu instid0(SALU_CYCLE_1)
	s_ashr_i32 s19, s18, 31
	s_wait_kmcnt 0x0
	v_cmp_le_i64_e64 s9, s[4:5], s[18:19]
	v_cmp_gt_i64_e64 s35, s[4:5], s[18:19]
	s_and_b32 vcc_lo, exec_lo, s9
	s_cbranch_vccnz .LBB69_11
; %bb.10:
	s_lshl_b64 s[4:5], s[18:19], 3
	s_mov_b32 s11, 0
	s_add_nc_u64 s[4:5], s[2:3], s[4:5]
	s_mov_b32 s10, s17
	s_load_b64 s[4:5], s[4:5], 0x0
	s_wait_kmcnt 0x0
	s_sub_nc_u64 s[22:23], s[4:5], s[10:11]
.LBB69_11:
	s_and_not1_b32 vcc_lo, exec_lo, s35
	s_cbranch_vccnz .LBB69_13
; %bb.12:
	s_lshl_b64 s[4:5], s[18:19], 3
	s_delay_alu instid0(SALU_CYCLE_1)
	s_add_nc_u64 s[2:3], s[2:3], s[4:5]
	s_mov_b32 s5, 0
	s_load_b64 s[2:3], s[2:3], 0x8
	s_mov_b32 s4, s17
	s_wait_kmcnt 0x0
	s_sub_nc_u64 s[20:21], s[2:3], s[4:5]
.LBB69_13:
	s_bfe_u32 s2, ttmp6, 0x40010
	s_clause 0x1
	s_load_b64 s[24:25], s[0:1], 0x48
	s_load_b64 s[26:27], s[0:1], 0x70
	s_add_co_i32 s2, s2, 1
	s_bfe_u32 s3, ttmp6, 0x40004
	s_mul_i32 s2, ttmp7, s2
	v_bfe_u32 v12, v0, 10, 10
	s_add_co_i32 s3, s3, s2
	s_cmp_eq_u32 s8, 0
	v_and_b32_e32 v6, 0x3ff, v0
	s_cselect_b32 s2, ttmp7, s3
	v_cmp_ge_i64_e64 s5, s[22:23], s[20:21]
	v_lshl_add_u32 v2, s2, 5, v12
	v_mov_b32_e32 v3, 0
	s_mov_b32 s29, 0
	s_delay_alu instid0(VALU_DEP_1)
	v_dual_mov_b32 v7, v3 :: v_dual_add_nc_u32 v0, 16, v2
	v_mov_b32_e32 v1, v3
	v_cmp_gt_i64_e64 s3, s[6:7], v[2:3]
	s_and_b32 vcc_lo, exec_lo, s5
	s_wait_kmcnt 0x0
	v_cmp_gt_i64_e64 s2, s[24:25], v[6:7]
	v_cmp_gt_i64_e64 s4, s[6:7], v[0:1]
	s_cbranch_vccnz .LBB69_31
; %bb.14:
	s_clause 0x2
	s_load_b128 s[8:11], s[0:1], 0x38
	s_load_b128 s[12:15], s[0:1], 0x50
	s_load_b64 s[30:31], s[0:1], 0x0
	v_dual_mov_b32 v13, v3 :: v_dual_lshlrev_b32 v19, 4, v6
	v_lshl_add_u32 v18, v12, 2, 0x200
	v_dual_lshlrev_b32 v20, 4, v12 :: v_dual_lshlrev_b32 v23, 2, v6
	s_delay_alu instid0(VALU_DEP_3) | instskip(SKIP_2) | instid1(VALU_DEP_4)
	v_cmp_gt_i64_e32 vcc_lo, s[24:25], v[12:13]
	v_cmp_gt_i64_e64 s36, s[24:25], 0
	v_mov_b64_e32 v[4:5], 0
	v_dual_add_nc_u32 v24, v18, v19 :: v_dual_add_nc_u32 v23, v23, v20
	s_mov_b32 s28, s17
	s_and_b32 s19, s2, vcc_lo
	s_wait_kmcnt 0x0
	v_mad_nc_u64_u32 v[14:15], s24, v12, s[10:11]
	v_mad_nc_u64_u32 v[16:17], s24, v6, s[10:11]
	v_mul_u64_e32 v[8:9], s[14:15], v[2:3]
	v_mul_u64_e32 v[10:11], s[14:15], v[0:1]
	s_bitcmp1_b32 s30, 0
	s_mul_u64 s[10:11], s[24:25], s[24:25]
	s_cselect_b32 s5, -1, 0
	s_cmp_eq_u32 s31, 0
	s_cselect_b32 vcc_lo, -1, 0
	s_and_b32 s17, s3, s36
	s_delay_alu instid0(VALU_DEP_4) | instskip(NEXT) | instid1(VALU_DEP_4)
	v_mad_u32 v15, s25, v12, v15
	v_mad_u32 v17, s25, v6, v17
	s_and_b32 s36, s4, s36
	s_delay_alu instid0(VALU_DEP_2) | instskip(NEXT) | instid1(VALU_DEP_2)
	v_add_nc_u64_e32 v[14:15], v[14:15], v[6:7]
	v_add_nc_u64_e32 v[16:17], v[16:17], v[12:13]
	;; [unrolled: 1-line block ×3, first 2 shown]
	v_add_nc_u32_e32 v21, 0x200, v19
	s_delay_alu instid0(VALU_DEP_3) | instskip(NEXT) | instid1(VALU_DEP_4)
	v_dual_cndmask_b32 v15, v15, v17 :: v_dual_add_nc_u32 v22, 0x100, v20
	v_cndmask_b32_e32 v14, v14, v16, vcc_lo
	s_branch .LBB69_17
.LBB69_15:                              ;   in Loop: Header=BB69_17 Depth=1
	s_or_b32 exec_lo, exec_lo, s38
.LBB69_16:                              ;   in Loop: Header=BB69_17 Depth=1
	s_delay_alu instid0(SALU_CYCLE_1) | instskip(SKIP_1) | instid1(SALU_CYCLE_1)
	s_or_b32 exec_lo, exec_lo, s37
	s_add_nc_u64 s[22:23], s[22:23], 1
	v_cmp_ge_i64_e64 s30, s[22:23], s[20:21]
	s_barrier_signal -1
	s_barrier_wait -1
	s_and_b32 vcc_lo, exec_lo, s30
	s_cbranch_vccnz .LBB69_32
.LBB69_17:                              ; =>This Loop Header: Depth=1
                                        ;     Child Loop BB69_27 Depth 2
                                        ;     Child Loop BB69_30 Depth 2
	s_and_saveexec_b32 s30, s2
	s_cbranch_execz .LBB69_22
; %bb.18:                               ;   in Loop: Header=BB69_17 Depth=1
	s_lshl_b64 s[38:39], s[22:23], 3
	s_delay_alu instid0(SALU_CYCLE_1) | instskip(SKIP_3) | instid1(SALU_CYCLE_1)
	s_add_nc_u64 s[38:39], s[8:9], s[38:39]
	s_load_b64 s[38:39], s[38:39], 0x0
	s_wait_kmcnt 0x0
	s_sub_nc_u64 s[38:39], s[38:39], s[28:29]
	v_mad_nc_u64_u32 v[26:27], s38, s24, v[6:7]
	s_mul_i32 s31, s39, s24
	s_mul_i32 s37, s38, s25
	s_delay_alu instid0(SALU_CYCLE_1) | instskip(NEXT) | instid1(VALU_DEP_1)
	s_add_co_i32 s37, s37, s31
	v_mad_nc_u64_u32 v[16:17], v26, s14, s[12:13]
	s_delay_alu instid0(VALU_DEP_2) | instskip(NEXT) | instid1(VALU_DEP_1)
	v_add_nc_u32_e32 v18, s37, v27
	v_mad_u32 v17, v18, s14, v17
	v_mad_nc_u64_u32 v[18:19], s38, s24, v[12:13]
	s_delay_alu instid0(VALU_DEP_2) | instskip(NEXT) | instid1(VALU_DEP_2)
	v_mad_u32 v17, v26, s15, v17
	v_add_nc_u32_e32 v19, s37, v19
	s_and_saveexec_b32 s31, s3
	s_cbranch_execz .LBB69_20
; %bb.19:                               ;   in Loop: Header=BB69_17 Depth=1
	s_delay_alu instid0(VALU_DEP_2) | instskip(NEXT) | instid1(VALU_DEP_2)
	v_add_nc_u64_e32 v[26:27], v[16:17], v[2:3]
	v_add_nc_u64_e32 v[28:29], v[18:19], v[8:9]
	s_delay_alu instid0(VALU_DEP_1)
	v_dual_cndmask_b32 v27, v27, v29, s5 :: v_dual_cndmask_b32 v26, v26, v28, s5
	global_load_i8 v25, v[26:27], off
	s_wait_loadcnt 0x0
	ds_store_b32 v23, v25
.LBB69_20:                              ;   in Loop: Header=BB69_17 Depth=1
	s_or_b32 exec_lo, exec_lo, s31
	s_delay_alu instid0(SALU_CYCLE_1)
	s_and_b32 exec_lo, exec_lo, s4
	s_cbranch_execz .LBB69_22
; %bb.21:                               ;   in Loop: Header=BB69_17 Depth=1
	s_delay_alu instid0(VALU_DEP_3) | instskip(NEXT) | instid1(VALU_DEP_3)
	v_add_nc_u64_e32 v[18:19], v[18:19], v[10:11]
	v_add_nc_u64_e32 v[16:17], v[16:17], v[0:1]
	s_delay_alu instid0(VALU_DEP_1)
	v_dual_cndmask_b32 v17, v17, v19, s5 :: v_dual_cndmask_b32 v16, v16, v18, s5
	global_load_i8 v16, v[16:17], off
	s_wait_loadcnt 0x0
	ds_store_b32 v23, v16 offset:256
.LBB69_22:                              ;   in Loop: Header=BB69_17 Depth=1
	s_or_b32 exec_lo, exec_lo, s30
	s_and_saveexec_b32 s30, s19
	s_cbranch_execz .LBB69_24
; %bb.23:                               ;   in Loop: Header=BB69_17 Depth=1
	v_mad_nc_u64_u32 v[16:17], s10, s22, v[14:15]
	s_mul_i32 s31, s11, s22
	s_mul_i32 s37, s10, s23
	s_delay_alu instid0(VALU_DEP_1) | instid1(SALU_CYCLE_1)
	v_add3_u32 v17, s37, s31, v17
	global_load_i8 v16, v[16:17], off
	s_wait_loadcnt 0x0
	ds_store_b32 v24, v16
.LBB69_24:                              ;   in Loop: Header=BB69_17 Depth=1
	s_or_b32 exec_lo, exec_lo, s30
	s_wait_dscnt 0x0
	s_barrier_signal -1
	s_barrier_wait -1
	s_and_saveexec_b32 s37, s2
	s_cbranch_execz .LBB69_16
; %bb.25:                               ;   in Loop: Header=BB69_17 Depth=1
	s_and_saveexec_b32 s38, s17
	s_cbranch_execz .LBB69_28
; %bb.26:                               ;   in Loop: Header=BB69_17 Depth=1
	v_dual_mov_b32 v16, v21 :: v_dual_mov_b32 v17, v20
	s_mov_b64 s[30:31], s[24:25]
.LBB69_27:                              ;   Parent Loop BB69_17 Depth=1
                                        ; =>  This Inner Loop Header: Depth=2
	ds_load_b32 v18, v16
	ds_load_b32 v19, v17
	v_dual_add_nc_u32 v17, 4, v17 :: v_dual_add_nc_u32 v16, 4, v16
	s_add_nc_u64 s[30:31], s[30:31], -1
	s_delay_alu instid0(SALU_CYCLE_1)
	s_cmp_lg_u64 s[30:31], 0
	s_wait_dscnt 0x0
	v_mad_u32 v4, v19, v18, v4
	s_cbranch_scc1 .LBB69_27
.LBB69_28:                              ;   in Loop: Header=BB69_17 Depth=1
	s_or_b32 exec_lo, exec_lo, s38
	s_and_saveexec_b32 s38, s36
	s_cbranch_execz .LBB69_15
; %bb.29:                               ;   in Loop: Header=BB69_17 Depth=1
	v_dual_mov_b32 v16, v21 :: v_dual_mov_b32 v17, v22
	s_mov_b64 s[30:31], s[24:25]
.LBB69_30:                              ;   Parent Loop BB69_17 Depth=1
                                        ; =>  This Inner Loop Header: Depth=2
	ds_load_b32 v18, v16
	ds_load_b32 v19, v17
	v_dual_add_nc_u32 v17, 4, v17 :: v_dual_add_nc_u32 v16, 4, v16
	s_add_nc_u64 s[30:31], s[30:31], -1
	s_delay_alu instid0(SALU_CYCLE_1)
	s_cmp_lg_u64 s[30:31], 0
	s_wait_dscnt 0x0
	v_mad_u32 v5, v19, v18, v5
	s_cbranch_scc1 .LBB69_30
	s_branch .LBB69_15
.LBB69_31:
	v_mov_b64_e32 v[4:5], 0
.LBB69_32:
	s_and_b32 s2, s35, s2
	s_delay_alu instid0(SALU_CYCLE_1)
	s_and_saveexec_b32 s3, s2
	s_cbranch_execz .LBB69_52
; %bb.33:
	v_mad_nc_u64_u32 v[6:7], s24, s18, v[6:7]
	s_load_b64 s[2:3], s[0:1], 0x78
	s_cmp_lg_u32 s34, 0
	s_wait_xcnt 0x0
	s_mov_b32 s0, exec_lo
	s_cselect_b32 s4, -1, 0
	s_cmp_lg_u32 s16, 1
	s_cselect_b32 s1, -1, 0
	s_delay_alu instid0(VALU_DEP_1) | instskip(SKIP_1) | instid1(VALU_DEP_1)
	v_mad_u32 v7, s25, s18, v7
	s_wait_kmcnt 0x0
	v_mul_u64_e32 v[8:9], s[2:3], v[6:7]
	v_lshl_add_u64 v[6:7], v[6:7], 2, s[26:27]
	s_delay_alu instid0(VALU_DEP_2)
	v_lshl_add_u64 v[8:9], v[8:9], 2, s[26:27]
	v_cmpx_gt_i64_e64 s[6:7], v[2:3]
	s_cbranch_execz .LBB69_45
; %bb.34:
	s_and_b32 vcc_lo, exec_lo, s4
	s_cbranch_vccz .LBB69_40
; %bb.35:
	s_and_b32 vcc_lo, exec_lo, s1
	s_mov_b32 s5, -1
	s_cbranch_vccz .LBB69_37
; %bb.36:
	v_lshl_add_u64 v[10:11], v[2:3], 2, v[8:9]
	v_mul_lo_u32 v13, v4, s33
	s_mov_b32 s5, 0
	global_load_b32 v12, v[10:11], off
	s_wait_loadcnt 0x0
	v_mad_u32 v12, v12, s34, v13
	global_store_b32 v[10:11], v12, off
.LBB69_37:
	s_and_not1_b32 vcc_lo, exec_lo, s5
	s_cbranch_vccnz .LBB69_39
; %bb.38:
	s_wait_xcnt 0x0
	v_mul_u64_e32 v[10:11], s[2:3], v[2:3]
	v_mul_lo_u32 v13, v4, s33
	s_delay_alu instid0(VALU_DEP_2)
	v_lshl_add_u64 v[10:11], v[10:11], 2, v[6:7]
	global_load_b32 v12, v[10:11], off
	s_wait_loadcnt 0x0
	v_mad_u32 v12, v12, s34, v13
	global_store_b32 v[10:11], v12, off
.LBB69_39:
	s_cbranch_execz .LBB69_41
	s_branch .LBB69_45
.LBB69_40:
.LBB69_41:
	v_mul_lo_u32 v4, v4, s33
	s_and_b32 vcc_lo, exec_lo, s1
	s_mov_b32 s5, -1
	s_cbranch_vccz .LBB69_43
; %bb.42:
	s_wait_xcnt 0x0
	v_lshl_add_u64 v[10:11], v[2:3], 2, v[8:9]
	s_mov_b32 s5, 0
	global_store_b32 v[10:11], v4, off
.LBB69_43:
	s_and_not1_b32 vcc_lo, exec_lo, s5
	s_cbranch_vccnz .LBB69_45
; %bb.44:
	v_mul_u64_e32 v[2:3], s[2:3], v[2:3]
	s_delay_alu instid0(VALU_DEP_1)
	v_lshl_add_u64 v[2:3], v[2:3], 2, v[6:7]
	global_store_b32 v[2:3], v4, off
.LBB69_45:
	s_wait_xcnt 0x0
	s_or_b32 exec_lo, exec_lo, s0
	v_cmp_gt_i64_e32 vcc_lo, s[6:7], v[0:1]
	s_and_b32 exec_lo, exec_lo, vcc_lo
	s_cbranch_execz .LBB69_52
; %bb.46:
	v_cndmask_b32_e64 v2, 0, 1, s1
	s_and_not1_b32 vcc_lo, exec_lo, s4
	s_delay_alu instid0(VALU_DEP_1)
	v_cmp_ne_u32_e64 s0, 1, v2
	s_cbranch_vccnz .LBB69_53
; %bb.47:
	s_and_b32 vcc_lo, exec_lo, s0
	s_mov_b32 s0, -1
	s_cbranch_vccnz .LBB69_49
; %bb.48:
	v_lshl_add_u64 v[2:3], v[0:1], 2, v[8:9]
	v_mul_lo_u32 v10, v5, s33
	s_mov_b32 s0, 0
	global_load_b32 v4, v[2:3], off
	s_wait_loadcnt 0x0
	v_mad_u32 v4, v4, s34, v10
	global_store_b32 v[2:3], v4, off
.LBB69_49:
	s_and_not1_b32 vcc_lo, exec_lo, s0
	s_cbranch_vccnz .LBB69_51
; %bb.50:
	s_wait_xcnt 0x0
	v_mul_u64_e32 v[2:3], s[2:3], v[0:1]
	v_mul_lo_u32 v10, v5, s33
	s_delay_alu instid0(VALU_DEP_2)
	v_lshl_add_u64 v[2:3], v[2:3], 2, v[6:7]
	global_load_b32 v4, v[2:3], off
	s_wait_loadcnt 0x0
	v_mad_u32 v4, v4, s34, v10
	global_store_b32 v[2:3], v4, off
.LBB69_51:
	s_cbranch_execz .LBB69_54
.LBB69_52:
	s_endpgm
.LBB69_53:
.LBB69_54:
	s_wait_xcnt 0x0
	v_mul_lo_u32 v2, v5, s33
	s_and_not1_b32 vcc_lo, exec_lo, s1
	s_mov_b32 s0, -1
	s_cbranch_vccnz .LBB69_56
; %bb.55:
	v_lshl_add_u64 v[4:5], v[0:1], 2, v[8:9]
	s_mov_b32 s0, 0
	global_store_b32 v[4:5], v2, off
.LBB69_56:
	s_and_not1_b32 vcc_lo, exec_lo, s0
	s_cbranch_vccnz .LBB69_52
; %bb.57:
	v_mul_u64_e32 v[0:1], s[2:3], v[0:1]
	s_delay_alu instid0(VALU_DEP_1)
	v_lshl_add_u64 v[0:1], v[0:1], 2, v[6:7]
	global_store_b32 v[0:1], v2, off
	s_endpgm
	.section	.rodata,"a",@progbits
	.p2align	6, 0x0
	.amdhsa_kernel _ZN9rocsparseL31bsrmm_large_blockdim_kernel_extILj4ELj16ELj2EllaaiiEEvb20rocsparse_direction_T3_S2_llNS_24const_host_device_scalarIT7_EEPKT2_PKS2_PKT4_S2_PKT5_llS5_PT6_ll16rocsparse_order_21rocsparse_index_base_b
		.amdhsa_group_segment_fixed_size 576
		.amdhsa_private_segment_fixed_size 0
		.amdhsa_kernarg_size 148
		.amdhsa_user_sgpr_count 2
		.amdhsa_user_sgpr_dispatch_ptr 0
		.amdhsa_user_sgpr_queue_ptr 0
		.amdhsa_user_sgpr_kernarg_segment_ptr 1
		.amdhsa_user_sgpr_dispatch_id 0
		.amdhsa_user_sgpr_kernarg_preload_length 0
		.amdhsa_user_sgpr_kernarg_preload_offset 0
		.amdhsa_user_sgpr_private_segment_size 0
		.amdhsa_wavefront_size32 1
		.amdhsa_uses_dynamic_stack 0
		.amdhsa_enable_private_segment 0
		.amdhsa_system_sgpr_workgroup_id_x 1
		.amdhsa_system_sgpr_workgroup_id_y 1
		.amdhsa_system_sgpr_workgroup_id_z 0
		.amdhsa_system_sgpr_workgroup_info 0
		.amdhsa_system_vgpr_workitem_id 1
		.amdhsa_next_free_vgpr 30
		.amdhsa_next_free_sgpr 40
		.amdhsa_named_barrier_count 0
		.amdhsa_reserve_vcc 1
		.amdhsa_float_round_mode_32 0
		.amdhsa_float_round_mode_16_64 0
		.amdhsa_float_denorm_mode_32 3
		.amdhsa_float_denorm_mode_16_64 3
		.amdhsa_fp16_overflow 0
		.amdhsa_memory_ordered 1
		.amdhsa_forward_progress 1
		.amdhsa_inst_pref_size 15
		.amdhsa_round_robin_scheduling 0
		.amdhsa_exception_fp_ieee_invalid_op 0
		.amdhsa_exception_fp_denorm_src 0
		.amdhsa_exception_fp_ieee_div_zero 0
		.amdhsa_exception_fp_ieee_overflow 0
		.amdhsa_exception_fp_ieee_underflow 0
		.amdhsa_exception_fp_ieee_inexact 0
		.amdhsa_exception_int_div_zero 0
	.end_amdhsa_kernel
	.section	.text._ZN9rocsparseL31bsrmm_large_blockdim_kernel_extILj4ELj16ELj2EllaaiiEEvb20rocsparse_direction_T3_S2_llNS_24const_host_device_scalarIT7_EEPKT2_PKS2_PKT4_S2_PKT5_llS5_PT6_ll16rocsparse_order_21rocsparse_index_base_b,"axG",@progbits,_ZN9rocsparseL31bsrmm_large_blockdim_kernel_extILj4ELj16ELj2EllaaiiEEvb20rocsparse_direction_T3_S2_llNS_24const_host_device_scalarIT7_EEPKT2_PKS2_PKT4_S2_PKT5_llS5_PT6_ll16rocsparse_order_21rocsparse_index_base_b,comdat
.Lfunc_end69:
	.size	_ZN9rocsparseL31bsrmm_large_blockdim_kernel_extILj4ELj16ELj2EllaaiiEEvb20rocsparse_direction_T3_S2_llNS_24const_host_device_scalarIT7_EEPKT2_PKS2_PKT4_S2_PKT5_llS5_PT6_ll16rocsparse_order_21rocsparse_index_base_b, .Lfunc_end69-_ZN9rocsparseL31bsrmm_large_blockdim_kernel_extILj4ELj16ELj2EllaaiiEEvb20rocsparse_direction_T3_S2_llNS_24const_host_device_scalarIT7_EEPKT2_PKS2_PKT4_S2_PKT5_llS5_PT6_ll16rocsparse_order_21rocsparse_index_base_b
                                        ; -- End function
	.set _ZN9rocsparseL31bsrmm_large_blockdim_kernel_extILj4ELj16ELj2EllaaiiEEvb20rocsparse_direction_T3_S2_llNS_24const_host_device_scalarIT7_EEPKT2_PKS2_PKT4_S2_PKT5_llS5_PT6_ll16rocsparse_order_21rocsparse_index_base_b.num_vgpr, 30
	.set _ZN9rocsparseL31bsrmm_large_blockdim_kernel_extILj4ELj16ELj2EllaaiiEEvb20rocsparse_direction_T3_S2_llNS_24const_host_device_scalarIT7_EEPKT2_PKS2_PKT4_S2_PKT5_llS5_PT6_ll16rocsparse_order_21rocsparse_index_base_b.num_agpr, 0
	.set _ZN9rocsparseL31bsrmm_large_blockdim_kernel_extILj4ELj16ELj2EllaaiiEEvb20rocsparse_direction_T3_S2_llNS_24const_host_device_scalarIT7_EEPKT2_PKS2_PKT4_S2_PKT5_llS5_PT6_ll16rocsparse_order_21rocsparse_index_base_b.numbered_sgpr, 40
	.set _ZN9rocsparseL31bsrmm_large_blockdim_kernel_extILj4ELj16ELj2EllaaiiEEvb20rocsparse_direction_T3_S2_llNS_24const_host_device_scalarIT7_EEPKT2_PKS2_PKT4_S2_PKT5_llS5_PT6_ll16rocsparse_order_21rocsparse_index_base_b.num_named_barrier, 0
	.set _ZN9rocsparseL31bsrmm_large_blockdim_kernel_extILj4ELj16ELj2EllaaiiEEvb20rocsparse_direction_T3_S2_llNS_24const_host_device_scalarIT7_EEPKT2_PKS2_PKT4_S2_PKT5_llS5_PT6_ll16rocsparse_order_21rocsparse_index_base_b.private_seg_size, 0
	.set _ZN9rocsparseL31bsrmm_large_blockdim_kernel_extILj4ELj16ELj2EllaaiiEEvb20rocsparse_direction_T3_S2_llNS_24const_host_device_scalarIT7_EEPKT2_PKS2_PKT4_S2_PKT5_llS5_PT6_ll16rocsparse_order_21rocsparse_index_base_b.uses_vcc, 1
	.set _ZN9rocsparseL31bsrmm_large_blockdim_kernel_extILj4ELj16ELj2EllaaiiEEvb20rocsparse_direction_T3_S2_llNS_24const_host_device_scalarIT7_EEPKT2_PKS2_PKT4_S2_PKT5_llS5_PT6_ll16rocsparse_order_21rocsparse_index_base_b.uses_flat_scratch, 0
	.set _ZN9rocsparseL31bsrmm_large_blockdim_kernel_extILj4ELj16ELj2EllaaiiEEvb20rocsparse_direction_T3_S2_llNS_24const_host_device_scalarIT7_EEPKT2_PKS2_PKT4_S2_PKT5_llS5_PT6_ll16rocsparse_order_21rocsparse_index_base_b.has_dyn_sized_stack, 0
	.set _ZN9rocsparseL31bsrmm_large_blockdim_kernel_extILj4ELj16ELj2EllaaiiEEvb20rocsparse_direction_T3_S2_llNS_24const_host_device_scalarIT7_EEPKT2_PKS2_PKT4_S2_PKT5_llS5_PT6_ll16rocsparse_order_21rocsparse_index_base_b.has_recursion, 0
	.set _ZN9rocsparseL31bsrmm_large_blockdim_kernel_extILj4ELj16ELj2EllaaiiEEvb20rocsparse_direction_T3_S2_llNS_24const_host_device_scalarIT7_EEPKT2_PKS2_PKT4_S2_PKT5_llS5_PT6_ll16rocsparse_order_21rocsparse_index_base_b.has_indirect_call, 0
	.section	.AMDGPU.csdata,"",@progbits
; Kernel info:
; codeLenInByte = 1896
; TotalNumSgprs: 42
; NumVgprs: 30
; ScratchSize: 0
; MemoryBound: 0
; FloatMode: 240
; IeeeMode: 1
; LDSByteSize: 576 bytes/workgroup (compile time only)
; SGPRBlocks: 0
; VGPRBlocks: 1
; NumSGPRsForWavesPerEU: 42
; NumVGPRsForWavesPerEU: 30
; NamedBarCnt: 0
; Occupancy: 16
; WaveLimiterHint : 1
; COMPUTE_PGM_RSRC2:SCRATCH_EN: 0
; COMPUTE_PGM_RSRC2:USER_SGPR: 2
; COMPUTE_PGM_RSRC2:TRAP_HANDLER: 0
; COMPUTE_PGM_RSRC2:TGID_X_EN: 1
; COMPUTE_PGM_RSRC2:TGID_Y_EN: 1
; COMPUTE_PGM_RSRC2:TGID_Z_EN: 0
; COMPUTE_PGM_RSRC2:TIDIG_COMP_CNT: 1
	.section	.text._ZN9rocsparseL31bsrmm_large_blockdim_kernel_extILj16ELj16ELj2EllaaiiEEvb20rocsparse_direction_T3_S2_llNS_24const_host_device_scalarIT7_EEPKT2_PKS2_PKT4_S2_PKT5_llS5_PT6_ll16rocsparse_order_21rocsparse_index_base_b,"axG",@progbits,_ZN9rocsparseL31bsrmm_large_blockdim_kernel_extILj16ELj16ELj2EllaaiiEEvb20rocsparse_direction_T3_S2_llNS_24const_host_device_scalarIT7_EEPKT2_PKS2_PKT4_S2_PKT5_llS5_PT6_ll16rocsparse_order_21rocsparse_index_base_b,comdat
	.globl	_ZN9rocsparseL31bsrmm_large_blockdim_kernel_extILj16ELj16ELj2EllaaiiEEvb20rocsparse_direction_T3_S2_llNS_24const_host_device_scalarIT7_EEPKT2_PKS2_PKT4_S2_PKT5_llS5_PT6_ll16rocsparse_order_21rocsparse_index_base_b ; -- Begin function _ZN9rocsparseL31bsrmm_large_blockdim_kernel_extILj16ELj16ELj2EllaaiiEEvb20rocsparse_direction_T3_S2_llNS_24const_host_device_scalarIT7_EEPKT2_PKS2_PKT4_S2_PKT5_llS5_PT6_ll16rocsparse_order_21rocsparse_index_base_b
	.p2align	8
	.type	_ZN9rocsparseL31bsrmm_large_blockdim_kernel_extILj16ELj16ELj2EllaaiiEEvb20rocsparse_direction_T3_S2_llNS_24const_host_device_scalarIT7_EEPKT2_PKS2_PKT4_S2_PKT5_llS5_PT6_ll16rocsparse_order_21rocsparse_index_base_b,@function
_ZN9rocsparseL31bsrmm_large_blockdim_kernel_extILj16ELj16ELj2EllaaiiEEvb20rocsparse_direction_T3_S2_llNS_24const_host_device_scalarIT7_EEPKT2_PKS2_PKT4_S2_PKT5_llS5_PT6_ll16rocsparse_order_21rocsparse_index_base_b: ; @_ZN9rocsparseL31bsrmm_large_blockdim_kernel_extILj16ELj16ELj2EllaaiiEEvb20rocsparse_direction_T3_S2_llNS_24const_host_device_scalarIT7_EEPKT2_PKS2_PKT4_S2_PKT5_llS5_PT6_ll16rocsparse_order_21rocsparse_index_base_b
; %bb.0:
	s_clause 0x1
	s_load_b96 s[16:18], s[0:1], 0x88
	s_load_b64 s[4:5], s[0:1], 0x28
	s_mov_b32 s7, -1
                                        ; implicit-def: $sgpr33
	s_wait_kmcnt 0x0
	s_bitcmp1_b32 s18, 0
	s_cselect_b32 s2, -1, 0
	s_delay_alu instid0(SALU_CYCLE_1) | instskip(NEXT) | instid1(SALU_CYCLE_1)
	s_xor_b32 s6, s2, -1
	s_and_b32 vcc_lo, exec_lo, s6
	s_cbranch_vccnz .LBB70_4
; %bb.1:
	s_load_b64 s[2:3], s[0:1], 0x68
	s_and_not1_b32 vcc_lo, exec_lo, s7
	s_cbranch_vccz .LBB70_5
.LBB70_2:
	s_and_b32 vcc_lo, exec_lo, s6
	s_cbranch_vccz .LBB70_6
.LBB70_3:
	s_wait_kmcnt 0x0
	s_load_b32 s34, s[2:3], 0x0
	s_wait_xcnt 0x0
	s_cbranch_execz .LBB70_7
	s_branch .LBB70_8
.LBB70_4:
	s_load_b32 s33, s[4:5], 0x0
	s_load_b64 s[2:3], s[0:1], 0x68
	s_cbranch_execnz .LBB70_2
.LBB70_5:
	s_wait_kmcnt 0x0
	s_mov_b32 s33, s4
	s_and_b32 vcc_lo, exec_lo, s6
	s_cbranch_vccnz .LBB70_3
.LBB70_6:
	s_wait_kmcnt 0x0
                                        ; implicit-def: $sgpr34
.LBB70_7:
	s_wait_kmcnt 0x0
	s_mov_b32 s34, s2
.LBB70_8:
	s_cmp_eq_u32 s33, 0
	s_cselect_b32 s2, -1, 0
	s_wait_kmcnt 0x0
	s_cmp_eq_u32 s34, 1
	s_cselect_b32 s3, -1, 0
	s_delay_alu instid0(SALU_CYCLE_1) | instskip(NEXT) | instid1(SALU_CYCLE_1)
	s_and_b32 s2, s2, s3
	s_and_b32 vcc_lo, exec_lo, s2
	s_cbranch_vccnz .LBB70_52
; %bb.9:
	s_clause 0x1
	s_load_b128 s[4:7], s[0:1], 0x8
	s_load_b64 s[2:3], s[0:1], 0x30
	s_bfe_u32 s8, ttmp6, 0x4000c
	s_and_b32 s9, ttmp6, 15
	s_add_co_i32 s8, s8, 1
	s_mov_b64 s[20:21], 0
	s_mul_i32 s10, ttmp9, s8
	s_getreg_b32 s8, hwreg(HW_REG_IB_STS2, 6, 4)
	s_add_co_i32 s9, s9, s10
	s_cmp_eq_u32 s8, 0
	s_mov_b64 s[22:23], 0
	s_cselect_b32 s18, ttmp9, s9
	s_delay_alu instid0(SALU_CYCLE_1)
	s_ashr_i32 s19, s18, 31
	s_wait_kmcnt 0x0
	v_cmp_le_i64_e64 s9, s[4:5], s[18:19]
	v_cmp_gt_i64_e64 s35, s[4:5], s[18:19]
	s_and_b32 vcc_lo, exec_lo, s9
	s_cbranch_vccnz .LBB70_11
; %bb.10:
	s_lshl_b64 s[4:5], s[18:19], 3
	s_mov_b32 s11, 0
	s_add_nc_u64 s[4:5], s[2:3], s[4:5]
	s_mov_b32 s10, s17
	s_load_b64 s[4:5], s[4:5], 0x0
	s_wait_kmcnt 0x0
	s_sub_nc_u64 s[22:23], s[4:5], s[10:11]
.LBB70_11:
	s_and_not1_b32 vcc_lo, exec_lo, s35
	s_cbranch_vccnz .LBB70_13
; %bb.12:
	s_lshl_b64 s[4:5], s[18:19], 3
	s_delay_alu instid0(SALU_CYCLE_1)
	s_add_nc_u64 s[2:3], s[2:3], s[4:5]
	s_mov_b32 s5, 0
	s_load_b64 s[2:3], s[2:3], 0x8
	s_mov_b32 s4, s17
	s_wait_kmcnt 0x0
	s_sub_nc_u64 s[20:21], s[2:3], s[4:5]
.LBB70_13:
	s_bfe_u32 s2, ttmp6, 0x40010
	s_clause 0x1
	s_load_b64 s[24:25], s[0:1], 0x48
	s_load_b64 s[26:27], s[0:1], 0x70
	s_add_co_i32 s2, s2, 1
	s_bfe_u32 s3, ttmp6, 0x40004
	s_mul_i32 s2, ttmp7, s2
	v_bfe_u32 v12, v0, 10, 10
	s_add_co_i32 s3, s3, s2
	s_cmp_eq_u32 s8, 0
	v_and_b32_e32 v6, 0x3ff, v0
	s_cselect_b32 s2, ttmp7, s3
	v_cmp_ge_i64_e64 s5, s[22:23], s[20:21]
	v_lshl_add_u32 v2, s2, 5, v12
	v_mov_b32_e32 v3, 0
	s_mov_b32 s29, 0
	s_delay_alu instid0(VALU_DEP_1)
	v_dual_mov_b32 v7, v3 :: v_dual_add_nc_u32 v0, 16, v2
	v_mov_b32_e32 v1, v3
	v_cmp_gt_i64_e64 s3, s[6:7], v[2:3]
	s_and_b32 vcc_lo, exec_lo, s5
	s_wait_kmcnt 0x0
	v_cmp_gt_i64_e64 s2, s[24:25], v[6:7]
	v_cmp_gt_i64_e64 s4, s[6:7], v[0:1]
	s_cbranch_vccnz .LBB70_31
; %bb.14:
	s_clause 0x2
	s_load_b128 s[8:11], s[0:1], 0x38
	s_load_b128 s[12:15], s[0:1], 0x50
	s_load_b64 s[30:31], s[0:1], 0x0
	v_dual_mov_b32 v13, v3 :: v_dual_lshlrev_b32 v19, 6, v6
	v_lshl_add_u32 v18, v12, 2, 0x800
	v_dual_lshlrev_b32 v20, 6, v12 :: v_dual_lshlrev_b32 v23, 2, v6
	s_delay_alu instid0(VALU_DEP_3) | instskip(SKIP_2) | instid1(VALU_DEP_4)
	v_cmp_gt_i64_e32 vcc_lo, s[24:25], v[12:13]
	v_cmp_gt_i64_e64 s36, s[24:25], 0
	v_mov_b64_e32 v[4:5], 0
	v_dual_add_nc_u32 v24, v18, v19 :: v_dual_add_nc_u32 v23, v23, v20
	s_mov_b32 s28, s17
	s_and_b32 s19, s2, vcc_lo
	s_wait_kmcnt 0x0
	v_mad_nc_u64_u32 v[14:15], s24, v12, s[10:11]
	v_mad_nc_u64_u32 v[16:17], s24, v6, s[10:11]
	v_mul_u64_e32 v[8:9], s[14:15], v[2:3]
	v_mul_u64_e32 v[10:11], s[14:15], v[0:1]
	s_bitcmp1_b32 s30, 0
	s_mul_u64 s[10:11], s[24:25], s[24:25]
	s_cselect_b32 s5, -1, 0
	s_cmp_eq_u32 s31, 0
	s_cselect_b32 vcc_lo, -1, 0
	s_and_b32 s17, s3, s36
	s_delay_alu instid0(VALU_DEP_4) | instskip(NEXT) | instid1(VALU_DEP_4)
	v_mad_u32 v15, s25, v12, v15
	v_mad_u32 v17, s25, v6, v17
	s_and_b32 s36, s4, s36
	s_delay_alu instid0(VALU_DEP_2) | instskip(NEXT) | instid1(VALU_DEP_2)
	v_add_nc_u64_e32 v[14:15], v[14:15], v[6:7]
	v_add_nc_u64_e32 v[16:17], v[16:17], v[12:13]
	;; [unrolled: 1-line block ×3, first 2 shown]
	v_add_nc_u32_e32 v21, 0x800, v19
	s_delay_alu instid0(VALU_DEP_3) | instskip(NEXT) | instid1(VALU_DEP_4)
	v_dual_cndmask_b32 v15, v15, v17 :: v_dual_add_nc_u32 v22, 0x400, v20
	v_cndmask_b32_e32 v14, v14, v16, vcc_lo
	s_branch .LBB70_17
.LBB70_15:                              ;   in Loop: Header=BB70_17 Depth=1
	s_or_b32 exec_lo, exec_lo, s38
.LBB70_16:                              ;   in Loop: Header=BB70_17 Depth=1
	s_delay_alu instid0(SALU_CYCLE_1) | instskip(SKIP_1) | instid1(SALU_CYCLE_1)
	s_or_b32 exec_lo, exec_lo, s37
	s_add_nc_u64 s[22:23], s[22:23], 1
	v_cmp_ge_i64_e64 s30, s[22:23], s[20:21]
	s_barrier_signal -1
	s_barrier_wait -1
	s_and_b32 vcc_lo, exec_lo, s30
	s_cbranch_vccnz .LBB70_32
.LBB70_17:                              ; =>This Loop Header: Depth=1
                                        ;     Child Loop BB70_27 Depth 2
                                        ;     Child Loop BB70_30 Depth 2
	s_and_saveexec_b32 s30, s2
	s_cbranch_execz .LBB70_22
; %bb.18:                               ;   in Loop: Header=BB70_17 Depth=1
	s_lshl_b64 s[38:39], s[22:23], 3
	s_delay_alu instid0(SALU_CYCLE_1) | instskip(SKIP_3) | instid1(SALU_CYCLE_1)
	s_add_nc_u64 s[38:39], s[8:9], s[38:39]
	s_load_b64 s[38:39], s[38:39], 0x0
	s_wait_kmcnt 0x0
	s_sub_nc_u64 s[38:39], s[38:39], s[28:29]
	v_mad_nc_u64_u32 v[26:27], s38, s24, v[6:7]
	s_mul_i32 s31, s39, s24
	s_mul_i32 s37, s38, s25
	s_delay_alu instid0(SALU_CYCLE_1) | instskip(NEXT) | instid1(VALU_DEP_1)
	s_add_co_i32 s37, s37, s31
	v_mad_nc_u64_u32 v[16:17], v26, s14, s[12:13]
	s_delay_alu instid0(VALU_DEP_2) | instskip(NEXT) | instid1(VALU_DEP_1)
	v_add_nc_u32_e32 v18, s37, v27
	v_mad_u32 v17, v18, s14, v17
	v_mad_nc_u64_u32 v[18:19], s38, s24, v[12:13]
	s_delay_alu instid0(VALU_DEP_2) | instskip(NEXT) | instid1(VALU_DEP_2)
	v_mad_u32 v17, v26, s15, v17
	v_add_nc_u32_e32 v19, s37, v19
	s_and_saveexec_b32 s31, s3
	s_cbranch_execz .LBB70_20
; %bb.19:                               ;   in Loop: Header=BB70_17 Depth=1
	s_delay_alu instid0(VALU_DEP_2) | instskip(NEXT) | instid1(VALU_DEP_2)
	v_add_nc_u64_e32 v[26:27], v[16:17], v[2:3]
	v_add_nc_u64_e32 v[28:29], v[18:19], v[8:9]
	s_delay_alu instid0(VALU_DEP_1)
	v_dual_cndmask_b32 v27, v27, v29, s5 :: v_dual_cndmask_b32 v26, v26, v28, s5
	global_load_i8 v25, v[26:27], off
	s_wait_loadcnt 0x0
	ds_store_b32 v23, v25
.LBB70_20:                              ;   in Loop: Header=BB70_17 Depth=1
	s_or_b32 exec_lo, exec_lo, s31
	s_delay_alu instid0(SALU_CYCLE_1)
	s_and_b32 exec_lo, exec_lo, s4
	s_cbranch_execz .LBB70_22
; %bb.21:                               ;   in Loop: Header=BB70_17 Depth=1
	s_delay_alu instid0(VALU_DEP_3) | instskip(NEXT) | instid1(VALU_DEP_3)
	v_add_nc_u64_e32 v[18:19], v[18:19], v[10:11]
	v_add_nc_u64_e32 v[16:17], v[16:17], v[0:1]
	s_delay_alu instid0(VALU_DEP_1)
	v_dual_cndmask_b32 v17, v17, v19, s5 :: v_dual_cndmask_b32 v16, v16, v18, s5
	global_load_i8 v16, v[16:17], off
	s_wait_loadcnt 0x0
	ds_store_b32 v23, v16 offset:1024
.LBB70_22:                              ;   in Loop: Header=BB70_17 Depth=1
	s_or_b32 exec_lo, exec_lo, s30
	s_and_saveexec_b32 s30, s19
	s_cbranch_execz .LBB70_24
; %bb.23:                               ;   in Loop: Header=BB70_17 Depth=1
	v_mad_nc_u64_u32 v[16:17], s10, s22, v[14:15]
	s_mul_i32 s31, s11, s22
	s_mul_i32 s37, s10, s23
	s_delay_alu instid0(VALU_DEP_1) | instid1(SALU_CYCLE_1)
	v_add3_u32 v17, s37, s31, v17
	global_load_i8 v16, v[16:17], off
	s_wait_loadcnt 0x0
	ds_store_b32 v24, v16
.LBB70_24:                              ;   in Loop: Header=BB70_17 Depth=1
	s_or_b32 exec_lo, exec_lo, s30
	s_wait_dscnt 0x0
	s_barrier_signal -1
	s_barrier_wait -1
	s_and_saveexec_b32 s37, s2
	s_cbranch_execz .LBB70_16
; %bb.25:                               ;   in Loop: Header=BB70_17 Depth=1
	s_and_saveexec_b32 s38, s17
	s_cbranch_execz .LBB70_28
; %bb.26:                               ;   in Loop: Header=BB70_17 Depth=1
	v_dual_mov_b32 v16, v21 :: v_dual_mov_b32 v17, v20
	s_mov_b64 s[30:31], s[24:25]
.LBB70_27:                              ;   Parent Loop BB70_17 Depth=1
                                        ; =>  This Inner Loop Header: Depth=2
	ds_load_b32 v18, v16
	ds_load_b32 v19, v17
	v_dual_add_nc_u32 v17, 4, v17 :: v_dual_add_nc_u32 v16, 4, v16
	s_add_nc_u64 s[30:31], s[30:31], -1
	s_delay_alu instid0(SALU_CYCLE_1)
	s_cmp_lg_u64 s[30:31], 0
	s_wait_dscnt 0x0
	v_mad_u32 v4, v19, v18, v4
	s_cbranch_scc1 .LBB70_27
.LBB70_28:                              ;   in Loop: Header=BB70_17 Depth=1
	s_or_b32 exec_lo, exec_lo, s38
	s_and_saveexec_b32 s38, s36
	s_cbranch_execz .LBB70_15
; %bb.29:                               ;   in Loop: Header=BB70_17 Depth=1
	v_dual_mov_b32 v16, v21 :: v_dual_mov_b32 v17, v22
	s_mov_b64 s[30:31], s[24:25]
.LBB70_30:                              ;   Parent Loop BB70_17 Depth=1
                                        ; =>  This Inner Loop Header: Depth=2
	ds_load_b32 v18, v16
	ds_load_b32 v19, v17
	v_dual_add_nc_u32 v17, 4, v17 :: v_dual_add_nc_u32 v16, 4, v16
	s_add_nc_u64 s[30:31], s[30:31], -1
	s_delay_alu instid0(SALU_CYCLE_1)
	s_cmp_lg_u64 s[30:31], 0
	s_wait_dscnt 0x0
	v_mad_u32 v5, v19, v18, v5
	s_cbranch_scc1 .LBB70_30
	s_branch .LBB70_15
.LBB70_31:
	v_mov_b64_e32 v[4:5], 0
.LBB70_32:
	s_and_b32 s2, s35, s2
	s_delay_alu instid0(SALU_CYCLE_1)
	s_and_saveexec_b32 s3, s2
	s_cbranch_execz .LBB70_52
; %bb.33:
	v_mad_nc_u64_u32 v[6:7], s24, s18, v[6:7]
	s_load_b64 s[2:3], s[0:1], 0x78
	s_cmp_lg_u32 s34, 0
	s_wait_xcnt 0x0
	s_mov_b32 s0, exec_lo
	s_cselect_b32 s4, -1, 0
	s_cmp_lg_u32 s16, 1
	s_cselect_b32 s1, -1, 0
	s_delay_alu instid0(VALU_DEP_1) | instskip(SKIP_1) | instid1(VALU_DEP_1)
	v_mad_u32 v7, s25, s18, v7
	s_wait_kmcnt 0x0
	v_mul_u64_e32 v[8:9], s[2:3], v[6:7]
	v_lshl_add_u64 v[6:7], v[6:7], 2, s[26:27]
	s_delay_alu instid0(VALU_DEP_2)
	v_lshl_add_u64 v[8:9], v[8:9], 2, s[26:27]
	v_cmpx_gt_i64_e64 s[6:7], v[2:3]
	s_cbranch_execz .LBB70_45
; %bb.34:
	s_and_b32 vcc_lo, exec_lo, s4
	s_cbranch_vccz .LBB70_40
; %bb.35:
	s_and_b32 vcc_lo, exec_lo, s1
	s_mov_b32 s5, -1
	s_cbranch_vccz .LBB70_37
; %bb.36:
	v_lshl_add_u64 v[10:11], v[2:3], 2, v[8:9]
	v_mul_lo_u32 v13, v4, s33
	s_mov_b32 s5, 0
	global_load_b32 v12, v[10:11], off
	s_wait_loadcnt 0x0
	v_mad_u32 v12, v12, s34, v13
	global_store_b32 v[10:11], v12, off
.LBB70_37:
	s_and_not1_b32 vcc_lo, exec_lo, s5
	s_cbranch_vccnz .LBB70_39
; %bb.38:
	s_wait_xcnt 0x0
	v_mul_u64_e32 v[10:11], s[2:3], v[2:3]
	v_mul_lo_u32 v13, v4, s33
	s_delay_alu instid0(VALU_DEP_2)
	v_lshl_add_u64 v[10:11], v[10:11], 2, v[6:7]
	global_load_b32 v12, v[10:11], off
	s_wait_loadcnt 0x0
	v_mad_u32 v12, v12, s34, v13
	global_store_b32 v[10:11], v12, off
.LBB70_39:
	s_cbranch_execz .LBB70_41
	s_branch .LBB70_45
.LBB70_40:
.LBB70_41:
	v_mul_lo_u32 v4, v4, s33
	s_and_b32 vcc_lo, exec_lo, s1
	s_mov_b32 s5, -1
	s_cbranch_vccz .LBB70_43
; %bb.42:
	s_wait_xcnt 0x0
	v_lshl_add_u64 v[10:11], v[2:3], 2, v[8:9]
	s_mov_b32 s5, 0
	global_store_b32 v[10:11], v4, off
.LBB70_43:
	s_and_not1_b32 vcc_lo, exec_lo, s5
	s_cbranch_vccnz .LBB70_45
; %bb.44:
	v_mul_u64_e32 v[2:3], s[2:3], v[2:3]
	s_delay_alu instid0(VALU_DEP_1)
	v_lshl_add_u64 v[2:3], v[2:3], 2, v[6:7]
	global_store_b32 v[2:3], v4, off
.LBB70_45:
	s_wait_xcnt 0x0
	s_or_b32 exec_lo, exec_lo, s0
	v_cmp_gt_i64_e32 vcc_lo, s[6:7], v[0:1]
	s_and_b32 exec_lo, exec_lo, vcc_lo
	s_cbranch_execz .LBB70_52
; %bb.46:
	v_cndmask_b32_e64 v2, 0, 1, s1
	s_and_not1_b32 vcc_lo, exec_lo, s4
	s_delay_alu instid0(VALU_DEP_1)
	v_cmp_ne_u32_e64 s0, 1, v2
	s_cbranch_vccnz .LBB70_53
; %bb.47:
	s_and_b32 vcc_lo, exec_lo, s0
	s_mov_b32 s0, -1
	s_cbranch_vccnz .LBB70_49
; %bb.48:
	v_lshl_add_u64 v[2:3], v[0:1], 2, v[8:9]
	v_mul_lo_u32 v10, v5, s33
	s_mov_b32 s0, 0
	global_load_b32 v4, v[2:3], off
	s_wait_loadcnt 0x0
	v_mad_u32 v4, v4, s34, v10
	global_store_b32 v[2:3], v4, off
.LBB70_49:
	s_and_not1_b32 vcc_lo, exec_lo, s0
	s_cbranch_vccnz .LBB70_51
; %bb.50:
	s_wait_xcnt 0x0
	v_mul_u64_e32 v[2:3], s[2:3], v[0:1]
	v_mul_lo_u32 v10, v5, s33
	s_delay_alu instid0(VALU_DEP_2)
	v_lshl_add_u64 v[2:3], v[2:3], 2, v[6:7]
	global_load_b32 v4, v[2:3], off
	s_wait_loadcnt 0x0
	v_mad_u32 v4, v4, s34, v10
	global_store_b32 v[2:3], v4, off
.LBB70_51:
	s_cbranch_execz .LBB70_54
.LBB70_52:
	s_endpgm
.LBB70_53:
.LBB70_54:
	s_wait_xcnt 0x0
	v_mul_lo_u32 v2, v5, s33
	s_and_not1_b32 vcc_lo, exec_lo, s1
	s_mov_b32 s0, -1
	s_cbranch_vccnz .LBB70_56
; %bb.55:
	v_lshl_add_u64 v[4:5], v[0:1], 2, v[8:9]
	s_mov_b32 s0, 0
	global_store_b32 v[4:5], v2, off
.LBB70_56:
	s_and_not1_b32 vcc_lo, exec_lo, s0
	s_cbranch_vccnz .LBB70_52
; %bb.57:
	v_mul_u64_e32 v[0:1], s[2:3], v[0:1]
	s_delay_alu instid0(VALU_DEP_1)
	v_lshl_add_u64 v[0:1], v[0:1], 2, v[6:7]
	global_store_b32 v[0:1], v2, off
	s_endpgm
	.section	.rodata,"a",@progbits
	.p2align	6, 0x0
	.amdhsa_kernel _ZN9rocsparseL31bsrmm_large_blockdim_kernel_extILj16ELj16ELj2EllaaiiEEvb20rocsparse_direction_T3_S2_llNS_24const_host_device_scalarIT7_EEPKT2_PKS2_PKT4_S2_PKT5_llS5_PT6_ll16rocsparse_order_21rocsparse_index_base_b
		.amdhsa_group_segment_fixed_size 3072
		.amdhsa_private_segment_fixed_size 0
		.amdhsa_kernarg_size 148
		.amdhsa_user_sgpr_count 2
		.amdhsa_user_sgpr_dispatch_ptr 0
		.amdhsa_user_sgpr_queue_ptr 0
		.amdhsa_user_sgpr_kernarg_segment_ptr 1
		.amdhsa_user_sgpr_dispatch_id 0
		.amdhsa_user_sgpr_kernarg_preload_length 0
		.amdhsa_user_sgpr_kernarg_preload_offset 0
		.amdhsa_user_sgpr_private_segment_size 0
		.amdhsa_wavefront_size32 1
		.amdhsa_uses_dynamic_stack 0
		.amdhsa_enable_private_segment 0
		.amdhsa_system_sgpr_workgroup_id_x 1
		.amdhsa_system_sgpr_workgroup_id_y 1
		.amdhsa_system_sgpr_workgroup_id_z 0
		.amdhsa_system_sgpr_workgroup_info 0
		.amdhsa_system_vgpr_workitem_id 1
		.amdhsa_next_free_vgpr 30
		.amdhsa_next_free_sgpr 40
		.amdhsa_named_barrier_count 0
		.amdhsa_reserve_vcc 1
		.amdhsa_float_round_mode_32 0
		.amdhsa_float_round_mode_16_64 0
		.amdhsa_float_denorm_mode_32 3
		.amdhsa_float_denorm_mode_16_64 3
		.amdhsa_fp16_overflow 0
		.amdhsa_memory_ordered 1
		.amdhsa_forward_progress 1
		.amdhsa_inst_pref_size 15
		.amdhsa_round_robin_scheduling 0
		.amdhsa_exception_fp_ieee_invalid_op 0
		.amdhsa_exception_fp_denorm_src 0
		.amdhsa_exception_fp_ieee_div_zero 0
		.amdhsa_exception_fp_ieee_overflow 0
		.amdhsa_exception_fp_ieee_underflow 0
		.amdhsa_exception_fp_ieee_inexact 0
		.amdhsa_exception_int_div_zero 0
	.end_amdhsa_kernel
	.section	.text._ZN9rocsparseL31bsrmm_large_blockdim_kernel_extILj16ELj16ELj2EllaaiiEEvb20rocsparse_direction_T3_S2_llNS_24const_host_device_scalarIT7_EEPKT2_PKS2_PKT4_S2_PKT5_llS5_PT6_ll16rocsparse_order_21rocsparse_index_base_b,"axG",@progbits,_ZN9rocsparseL31bsrmm_large_blockdim_kernel_extILj16ELj16ELj2EllaaiiEEvb20rocsparse_direction_T3_S2_llNS_24const_host_device_scalarIT7_EEPKT2_PKS2_PKT4_S2_PKT5_llS5_PT6_ll16rocsparse_order_21rocsparse_index_base_b,comdat
.Lfunc_end70:
	.size	_ZN9rocsparseL31bsrmm_large_blockdim_kernel_extILj16ELj16ELj2EllaaiiEEvb20rocsparse_direction_T3_S2_llNS_24const_host_device_scalarIT7_EEPKT2_PKS2_PKT4_S2_PKT5_llS5_PT6_ll16rocsparse_order_21rocsparse_index_base_b, .Lfunc_end70-_ZN9rocsparseL31bsrmm_large_blockdim_kernel_extILj16ELj16ELj2EllaaiiEEvb20rocsparse_direction_T3_S2_llNS_24const_host_device_scalarIT7_EEPKT2_PKS2_PKT4_S2_PKT5_llS5_PT6_ll16rocsparse_order_21rocsparse_index_base_b
                                        ; -- End function
	.set _ZN9rocsparseL31bsrmm_large_blockdim_kernel_extILj16ELj16ELj2EllaaiiEEvb20rocsparse_direction_T3_S2_llNS_24const_host_device_scalarIT7_EEPKT2_PKS2_PKT4_S2_PKT5_llS5_PT6_ll16rocsparse_order_21rocsparse_index_base_b.num_vgpr, 30
	.set _ZN9rocsparseL31bsrmm_large_blockdim_kernel_extILj16ELj16ELj2EllaaiiEEvb20rocsparse_direction_T3_S2_llNS_24const_host_device_scalarIT7_EEPKT2_PKS2_PKT4_S2_PKT5_llS5_PT6_ll16rocsparse_order_21rocsparse_index_base_b.num_agpr, 0
	.set _ZN9rocsparseL31bsrmm_large_blockdim_kernel_extILj16ELj16ELj2EllaaiiEEvb20rocsparse_direction_T3_S2_llNS_24const_host_device_scalarIT7_EEPKT2_PKS2_PKT4_S2_PKT5_llS5_PT6_ll16rocsparse_order_21rocsparse_index_base_b.numbered_sgpr, 40
	.set _ZN9rocsparseL31bsrmm_large_blockdim_kernel_extILj16ELj16ELj2EllaaiiEEvb20rocsparse_direction_T3_S2_llNS_24const_host_device_scalarIT7_EEPKT2_PKS2_PKT4_S2_PKT5_llS5_PT6_ll16rocsparse_order_21rocsparse_index_base_b.num_named_barrier, 0
	.set _ZN9rocsparseL31bsrmm_large_blockdim_kernel_extILj16ELj16ELj2EllaaiiEEvb20rocsparse_direction_T3_S2_llNS_24const_host_device_scalarIT7_EEPKT2_PKS2_PKT4_S2_PKT5_llS5_PT6_ll16rocsparse_order_21rocsparse_index_base_b.private_seg_size, 0
	.set _ZN9rocsparseL31bsrmm_large_blockdim_kernel_extILj16ELj16ELj2EllaaiiEEvb20rocsparse_direction_T3_S2_llNS_24const_host_device_scalarIT7_EEPKT2_PKS2_PKT4_S2_PKT5_llS5_PT6_ll16rocsparse_order_21rocsparse_index_base_b.uses_vcc, 1
	.set _ZN9rocsparseL31bsrmm_large_blockdim_kernel_extILj16ELj16ELj2EllaaiiEEvb20rocsparse_direction_T3_S2_llNS_24const_host_device_scalarIT7_EEPKT2_PKS2_PKT4_S2_PKT5_llS5_PT6_ll16rocsparse_order_21rocsparse_index_base_b.uses_flat_scratch, 0
	.set _ZN9rocsparseL31bsrmm_large_blockdim_kernel_extILj16ELj16ELj2EllaaiiEEvb20rocsparse_direction_T3_S2_llNS_24const_host_device_scalarIT7_EEPKT2_PKS2_PKT4_S2_PKT5_llS5_PT6_ll16rocsparse_order_21rocsparse_index_base_b.has_dyn_sized_stack, 0
	.set _ZN9rocsparseL31bsrmm_large_blockdim_kernel_extILj16ELj16ELj2EllaaiiEEvb20rocsparse_direction_T3_S2_llNS_24const_host_device_scalarIT7_EEPKT2_PKS2_PKT4_S2_PKT5_llS5_PT6_ll16rocsparse_order_21rocsparse_index_base_b.has_recursion, 0
	.set _ZN9rocsparseL31bsrmm_large_blockdim_kernel_extILj16ELj16ELj2EllaaiiEEvb20rocsparse_direction_T3_S2_llNS_24const_host_device_scalarIT7_EEPKT2_PKS2_PKT4_S2_PKT5_llS5_PT6_ll16rocsparse_order_21rocsparse_index_base_b.has_indirect_call, 0
	.section	.AMDGPU.csdata,"",@progbits
; Kernel info:
; codeLenInByte = 1896
; TotalNumSgprs: 42
; NumVgprs: 30
; ScratchSize: 0
; MemoryBound: 0
; FloatMode: 240
; IeeeMode: 1
; LDSByteSize: 3072 bytes/workgroup (compile time only)
; SGPRBlocks: 0
; VGPRBlocks: 1
; NumSGPRsForWavesPerEU: 42
; NumVGPRsForWavesPerEU: 30
; NamedBarCnt: 0
; Occupancy: 16
; WaveLimiterHint : 1
; COMPUTE_PGM_RSRC2:SCRATCH_EN: 0
; COMPUTE_PGM_RSRC2:USER_SGPR: 2
; COMPUTE_PGM_RSRC2:TRAP_HANDLER: 0
; COMPUTE_PGM_RSRC2:TGID_X_EN: 1
; COMPUTE_PGM_RSRC2:TGID_Y_EN: 1
; COMPUTE_PGM_RSRC2:TGID_Z_EN: 0
; COMPUTE_PGM_RSRC2:TIDIG_COMP_CNT: 1
	.section	.text._ZN9rocsparseL31bsrmm_large_blockdim_kernel_extILj32ELj32ELj2EllaaiiEEvb20rocsparse_direction_T3_S2_llNS_24const_host_device_scalarIT7_EEPKT2_PKS2_PKT4_S2_PKT5_llS5_PT6_ll16rocsparse_order_21rocsparse_index_base_b,"axG",@progbits,_ZN9rocsparseL31bsrmm_large_blockdim_kernel_extILj32ELj32ELj2EllaaiiEEvb20rocsparse_direction_T3_S2_llNS_24const_host_device_scalarIT7_EEPKT2_PKS2_PKT4_S2_PKT5_llS5_PT6_ll16rocsparse_order_21rocsparse_index_base_b,comdat
	.globl	_ZN9rocsparseL31bsrmm_large_blockdim_kernel_extILj32ELj32ELj2EllaaiiEEvb20rocsparse_direction_T3_S2_llNS_24const_host_device_scalarIT7_EEPKT2_PKS2_PKT4_S2_PKT5_llS5_PT6_ll16rocsparse_order_21rocsparse_index_base_b ; -- Begin function _ZN9rocsparseL31bsrmm_large_blockdim_kernel_extILj32ELj32ELj2EllaaiiEEvb20rocsparse_direction_T3_S2_llNS_24const_host_device_scalarIT7_EEPKT2_PKS2_PKT4_S2_PKT5_llS5_PT6_ll16rocsparse_order_21rocsparse_index_base_b
	.p2align	8
	.type	_ZN9rocsparseL31bsrmm_large_blockdim_kernel_extILj32ELj32ELj2EllaaiiEEvb20rocsparse_direction_T3_S2_llNS_24const_host_device_scalarIT7_EEPKT2_PKS2_PKT4_S2_PKT5_llS5_PT6_ll16rocsparse_order_21rocsparse_index_base_b,@function
_ZN9rocsparseL31bsrmm_large_blockdim_kernel_extILj32ELj32ELj2EllaaiiEEvb20rocsparse_direction_T3_S2_llNS_24const_host_device_scalarIT7_EEPKT2_PKS2_PKT4_S2_PKT5_llS5_PT6_ll16rocsparse_order_21rocsparse_index_base_b: ; @_ZN9rocsparseL31bsrmm_large_blockdim_kernel_extILj32ELj32ELj2EllaaiiEEvb20rocsparse_direction_T3_S2_llNS_24const_host_device_scalarIT7_EEPKT2_PKS2_PKT4_S2_PKT5_llS5_PT6_ll16rocsparse_order_21rocsparse_index_base_b
; %bb.0:
	s_clause 0x1
	s_load_b96 s[16:18], s[0:1], 0x88
	s_load_b64 s[4:5], s[0:1], 0x28
	s_mov_b32 s7, -1
                                        ; implicit-def: $sgpr33
	s_wait_kmcnt 0x0
	s_bitcmp1_b32 s18, 0
	s_cselect_b32 s2, -1, 0
	s_delay_alu instid0(SALU_CYCLE_1) | instskip(NEXT) | instid1(SALU_CYCLE_1)
	s_xor_b32 s6, s2, -1
	s_and_b32 vcc_lo, exec_lo, s6
	s_cbranch_vccnz .LBB71_4
; %bb.1:
	s_load_b64 s[2:3], s[0:1], 0x68
	s_and_not1_b32 vcc_lo, exec_lo, s7
	s_cbranch_vccz .LBB71_5
.LBB71_2:
	s_and_b32 vcc_lo, exec_lo, s6
	s_cbranch_vccz .LBB71_6
.LBB71_3:
	s_wait_kmcnt 0x0
	s_load_b32 s34, s[2:3], 0x0
	s_wait_xcnt 0x0
	s_cbranch_execz .LBB71_7
	s_branch .LBB71_8
.LBB71_4:
	s_load_b32 s33, s[4:5], 0x0
	s_load_b64 s[2:3], s[0:1], 0x68
	s_cbranch_execnz .LBB71_2
.LBB71_5:
	s_wait_kmcnt 0x0
	s_mov_b32 s33, s4
	s_and_b32 vcc_lo, exec_lo, s6
	s_cbranch_vccnz .LBB71_3
.LBB71_6:
	s_wait_kmcnt 0x0
                                        ; implicit-def: $sgpr34
.LBB71_7:
	s_wait_kmcnt 0x0
	s_mov_b32 s34, s2
.LBB71_8:
	s_cmp_eq_u32 s33, 0
	s_cselect_b32 s2, -1, 0
	s_wait_kmcnt 0x0
	s_cmp_eq_u32 s34, 1
	s_cselect_b32 s3, -1, 0
	s_delay_alu instid0(SALU_CYCLE_1) | instskip(NEXT) | instid1(SALU_CYCLE_1)
	s_and_b32 s2, s2, s3
	s_and_b32 vcc_lo, exec_lo, s2
	s_cbranch_vccnz .LBB71_52
; %bb.9:
	s_clause 0x1
	s_load_b128 s[4:7], s[0:1], 0x8
	s_load_b64 s[2:3], s[0:1], 0x30
	s_bfe_u32 s8, ttmp6, 0x4000c
	s_and_b32 s9, ttmp6, 15
	s_add_co_i32 s8, s8, 1
	s_mov_b64 s[20:21], 0
	s_mul_i32 s10, ttmp9, s8
	s_getreg_b32 s8, hwreg(HW_REG_IB_STS2, 6, 4)
	s_add_co_i32 s9, s9, s10
	s_cmp_eq_u32 s8, 0
	s_mov_b64 s[22:23], 0
	s_cselect_b32 s18, ttmp9, s9
	s_delay_alu instid0(SALU_CYCLE_1)
	s_ashr_i32 s19, s18, 31
	s_wait_kmcnt 0x0
	v_cmp_le_i64_e64 s9, s[4:5], s[18:19]
	v_cmp_gt_i64_e64 s35, s[4:5], s[18:19]
	s_and_b32 vcc_lo, exec_lo, s9
	s_cbranch_vccnz .LBB71_11
; %bb.10:
	s_lshl_b64 s[4:5], s[18:19], 3
	s_mov_b32 s11, 0
	s_add_nc_u64 s[4:5], s[2:3], s[4:5]
	s_mov_b32 s10, s17
	s_load_b64 s[4:5], s[4:5], 0x0
	s_wait_kmcnt 0x0
	s_sub_nc_u64 s[22:23], s[4:5], s[10:11]
.LBB71_11:
	s_and_not1_b32 vcc_lo, exec_lo, s35
	s_cbranch_vccnz .LBB71_13
; %bb.12:
	s_lshl_b64 s[4:5], s[18:19], 3
	s_delay_alu instid0(SALU_CYCLE_1)
	s_add_nc_u64 s[2:3], s[2:3], s[4:5]
	s_mov_b32 s5, 0
	s_load_b64 s[2:3], s[2:3], 0x8
	s_mov_b32 s4, s17
	s_wait_kmcnt 0x0
	s_sub_nc_u64 s[20:21], s[2:3], s[4:5]
.LBB71_13:
	s_bfe_u32 s2, ttmp6, 0x40010
	s_clause 0x1
	s_load_b64 s[24:25], s[0:1], 0x48
	s_load_b64 s[26:27], s[0:1], 0x70
	s_add_co_i32 s2, s2, 1
	s_bfe_u32 s3, ttmp6, 0x40004
	s_mul_i32 s2, ttmp7, s2
	v_bfe_u32 v12, v0, 10, 10
	s_add_co_i32 s3, s3, s2
	s_cmp_eq_u32 s8, 0
	v_and_b32_e32 v6, 0x3ff, v0
	s_cselect_b32 s2, ttmp7, s3
	v_cmp_ge_i64_e64 s5, s[22:23], s[20:21]
	v_lshl_add_u32 v2, s2, 6, v12
	v_mov_b32_e32 v3, 0
	s_mov_b32 s29, 0
	s_delay_alu instid0(VALU_DEP_1)
	v_dual_mov_b32 v7, v3 :: v_dual_add_nc_u32 v0, 32, v2
	v_mov_b32_e32 v1, v3
	v_cmp_gt_i64_e64 s3, s[6:7], v[2:3]
	s_and_b32 vcc_lo, exec_lo, s5
	s_wait_kmcnt 0x0
	v_cmp_gt_i64_e64 s2, s[24:25], v[6:7]
	v_cmp_gt_i64_e64 s4, s[6:7], v[0:1]
	s_cbranch_vccnz .LBB71_31
; %bb.14:
	s_clause 0x2
	s_load_b128 s[8:11], s[0:1], 0x38
	s_load_b128 s[12:15], s[0:1], 0x50
	s_load_b64 s[30:31], s[0:1], 0x0
	v_dual_mov_b32 v13, v3 :: v_dual_lshlrev_b32 v19, 7, v6
	v_lshl_add_u32 v18, v12, 2, 0x2000
	v_dual_lshlrev_b32 v20, 7, v12 :: v_dual_lshlrev_b32 v23, 2, v6
	s_delay_alu instid0(VALU_DEP_3) | instskip(SKIP_2) | instid1(VALU_DEP_4)
	v_cmp_gt_i64_e32 vcc_lo, s[24:25], v[12:13]
	v_cmp_gt_i64_e64 s36, s[24:25], 0
	v_mov_b64_e32 v[4:5], 0
	v_dual_add_nc_u32 v24, v18, v19 :: v_dual_add_nc_u32 v23, v23, v20
	s_mov_b32 s28, s17
	s_and_b32 s19, s2, vcc_lo
	s_wait_kmcnt 0x0
	v_mad_nc_u64_u32 v[14:15], s24, v12, s[10:11]
	v_mad_nc_u64_u32 v[16:17], s24, v6, s[10:11]
	v_mul_u64_e32 v[8:9], s[14:15], v[2:3]
	v_mul_u64_e32 v[10:11], s[14:15], v[0:1]
	s_bitcmp1_b32 s30, 0
	s_mul_u64 s[10:11], s[24:25], s[24:25]
	s_cselect_b32 s5, -1, 0
	s_cmp_eq_u32 s31, 0
	s_cselect_b32 vcc_lo, -1, 0
	s_and_b32 s17, s3, s36
	s_delay_alu instid0(VALU_DEP_4) | instskip(NEXT) | instid1(VALU_DEP_4)
	v_mad_u32 v15, s25, v12, v15
	v_mad_u32 v17, s25, v6, v17
	s_and_b32 s36, s4, s36
	s_delay_alu instid0(VALU_DEP_2) | instskip(NEXT) | instid1(VALU_DEP_2)
	v_add_nc_u64_e32 v[14:15], v[14:15], v[6:7]
	v_add_nc_u64_e32 v[16:17], v[16:17], v[12:13]
	;; [unrolled: 1-line block ×3, first 2 shown]
	v_add_nc_u32_e32 v21, 0x2000, v19
	s_delay_alu instid0(VALU_DEP_3) | instskip(NEXT) | instid1(VALU_DEP_4)
	v_dual_cndmask_b32 v15, v15, v17 :: v_dual_add_nc_u32 v22, 0x1000, v20
	v_cndmask_b32_e32 v14, v14, v16, vcc_lo
	s_branch .LBB71_17
.LBB71_15:                              ;   in Loop: Header=BB71_17 Depth=1
	s_or_b32 exec_lo, exec_lo, s38
.LBB71_16:                              ;   in Loop: Header=BB71_17 Depth=1
	s_delay_alu instid0(SALU_CYCLE_1) | instskip(SKIP_1) | instid1(SALU_CYCLE_1)
	s_or_b32 exec_lo, exec_lo, s37
	s_add_nc_u64 s[22:23], s[22:23], 1
	v_cmp_ge_i64_e64 s30, s[22:23], s[20:21]
	s_barrier_signal -1
	s_barrier_wait -1
	s_and_b32 vcc_lo, exec_lo, s30
	s_cbranch_vccnz .LBB71_32
.LBB71_17:                              ; =>This Loop Header: Depth=1
                                        ;     Child Loop BB71_27 Depth 2
                                        ;     Child Loop BB71_30 Depth 2
	s_and_saveexec_b32 s30, s2
	s_cbranch_execz .LBB71_22
; %bb.18:                               ;   in Loop: Header=BB71_17 Depth=1
	s_lshl_b64 s[38:39], s[22:23], 3
	s_delay_alu instid0(SALU_CYCLE_1) | instskip(SKIP_3) | instid1(SALU_CYCLE_1)
	s_add_nc_u64 s[38:39], s[8:9], s[38:39]
	s_load_b64 s[38:39], s[38:39], 0x0
	s_wait_kmcnt 0x0
	s_sub_nc_u64 s[38:39], s[38:39], s[28:29]
	v_mad_nc_u64_u32 v[26:27], s38, s24, v[6:7]
	s_mul_i32 s31, s39, s24
	s_mul_i32 s37, s38, s25
	s_delay_alu instid0(SALU_CYCLE_1) | instskip(NEXT) | instid1(VALU_DEP_1)
	s_add_co_i32 s37, s37, s31
	v_mad_nc_u64_u32 v[16:17], v26, s14, s[12:13]
	s_delay_alu instid0(VALU_DEP_2) | instskip(NEXT) | instid1(VALU_DEP_1)
	v_add_nc_u32_e32 v18, s37, v27
	v_mad_u32 v17, v18, s14, v17
	v_mad_nc_u64_u32 v[18:19], s38, s24, v[12:13]
	s_delay_alu instid0(VALU_DEP_2) | instskip(NEXT) | instid1(VALU_DEP_2)
	v_mad_u32 v17, v26, s15, v17
	v_add_nc_u32_e32 v19, s37, v19
	s_and_saveexec_b32 s31, s3
	s_cbranch_execz .LBB71_20
; %bb.19:                               ;   in Loop: Header=BB71_17 Depth=1
	s_delay_alu instid0(VALU_DEP_2) | instskip(NEXT) | instid1(VALU_DEP_2)
	v_add_nc_u64_e32 v[26:27], v[16:17], v[2:3]
	v_add_nc_u64_e32 v[28:29], v[18:19], v[8:9]
	s_delay_alu instid0(VALU_DEP_1)
	v_dual_cndmask_b32 v27, v27, v29, s5 :: v_dual_cndmask_b32 v26, v26, v28, s5
	global_load_i8 v25, v[26:27], off
	s_wait_loadcnt 0x0
	ds_store_b32 v23, v25
.LBB71_20:                              ;   in Loop: Header=BB71_17 Depth=1
	s_or_b32 exec_lo, exec_lo, s31
	s_delay_alu instid0(SALU_CYCLE_1)
	s_and_b32 exec_lo, exec_lo, s4
	s_cbranch_execz .LBB71_22
; %bb.21:                               ;   in Loop: Header=BB71_17 Depth=1
	s_delay_alu instid0(VALU_DEP_3) | instskip(NEXT) | instid1(VALU_DEP_3)
	v_add_nc_u64_e32 v[18:19], v[18:19], v[10:11]
	v_add_nc_u64_e32 v[16:17], v[16:17], v[0:1]
	s_delay_alu instid0(VALU_DEP_1)
	v_dual_cndmask_b32 v17, v17, v19, s5 :: v_dual_cndmask_b32 v16, v16, v18, s5
	global_load_i8 v16, v[16:17], off
	s_wait_loadcnt 0x0
	ds_store_b32 v23, v16 offset:4096
.LBB71_22:                              ;   in Loop: Header=BB71_17 Depth=1
	s_or_b32 exec_lo, exec_lo, s30
	s_and_saveexec_b32 s30, s19
	s_cbranch_execz .LBB71_24
; %bb.23:                               ;   in Loop: Header=BB71_17 Depth=1
	v_mad_nc_u64_u32 v[16:17], s10, s22, v[14:15]
	s_mul_i32 s31, s11, s22
	s_mul_i32 s37, s10, s23
	s_delay_alu instid0(VALU_DEP_1) | instid1(SALU_CYCLE_1)
	v_add3_u32 v17, s37, s31, v17
	global_load_i8 v16, v[16:17], off
	s_wait_loadcnt 0x0
	ds_store_b32 v24, v16
.LBB71_24:                              ;   in Loop: Header=BB71_17 Depth=1
	s_or_b32 exec_lo, exec_lo, s30
	s_wait_dscnt 0x0
	s_barrier_signal -1
	s_barrier_wait -1
	s_and_saveexec_b32 s37, s2
	s_cbranch_execz .LBB71_16
; %bb.25:                               ;   in Loop: Header=BB71_17 Depth=1
	s_and_saveexec_b32 s38, s17
	s_cbranch_execz .LBB71_28
; %bb.26:                               ;   in Loop: Header=BB71_17 Depth=1
	v_dual_mov_b32 v16, v21 :: v_dual_mov_b32 v17, v20
	s_mov_b64 s[30:31], s[24:25]
.LBB71_27:                              ;   Parent Loop BB71_17 Depth=1
                                        ; =>  This Inner Loop Header: Depth=2
	ds_load_b32 v18, v16
	ds_load_b32 v19, v17
	v_dual_add_nc_u32 v17, 4, v17 :: v_dual_add_nc_u32 v16, 4, v16
	s_add_nc_u64 s[30:31], s[30:31], -1
	s_delay_alu instid0(SALU_CYCLE_1)
	s_cmp_lg_u64 s[30:31], 0
	s_wait_dscnt 0x0
	v_mad_u32 v4, v19, v18, v4
	s_cbranch_scc1 .LBB71_27
.LBB71_28:                              ;   in Loop: Header=BB71_17 Depth=1
	s_or_b32 exec_lo, exec_lo, s38
	s_and_saveexec_b32 s38, s36
	s_cbranch_execz .LBB71_15
; %bb.29:                               ;   in Loop: Header=BB71_17 Depth=1
	v_dual_mov_b32 v16, v21 :: v_dual_mov_b32 v17, v22
	s_mov_b64 s[30:31], s[24:25]
.LBB71_30:                              ;   Parent Loop BB71_17 Depth=1
                                        ; =>  This Inner Loop Header: Depth=2
	ds_load_b32 v18, v16
	ds_load_b32 v19, v17
	v_dual_add_nc_u32 v17, 4, v17 :: v_dual_add_nc_u32 v16, 4, v16
	s_add_nc_u64 s[30:31], s[30:31], -1
	s_delay_alu instid0(SALU_CYCLE_1)
	s_cmp_lg_u64 s[30:31], 0
	s_wait_dscnt 0x0
	v_mad_u32 v5, v19, v18, v5
	s_cbranch_scc1 .LBB71_30
	s_branch .LBB71_15
.LBB71_31:
	v_mov_b64_e32 v[4:5], 0
.LBB71_32:
	s_and_b32 s2, s35, s2
	s_delay_alu instid0(SALU_CYCLE_1)
	s_and_saveexec_b32 s3, s2
	s_cbranch_execz .LBB71_52
; %bb.33:
	v_mad_nc_u64_u32 v[6:7], s24, s18, v[6:7]
	s_load_b64 s[2:3], s[0:1], 0x78
	s_cmp_lg_u32 s34, 0
	s_wait_xcnt 0x0
	s_mov_b32 s0, exec_lo
	s_cselect_b32 s4, -1, 0
	s_cmp_lg_u32 s16, 1
	s_cselect_b32 s1, -1, 0
	s_delay_alu instid0(VALU_DEP_1) | instskip(SKIP_1) | instid1(VALU_DEP_1)
	v_mad_u32 v7, s25, s18, v7
	s_wait_kmcnt 0x0
	v_mul_u64_e32 v[8:9], s[2:3], v[6:7]
	v_lshl_add_u64 v[6:7], v[6:7], 2, s[26:27]
	s_delay_alu instid0(VALU_DEP_2)
	v_lshl_add_u64 v[8:9], v[8:9], 2, s[26:27]
	v_cmpx_gt_i64_e64 s[6:7], v[2:3]
	s_cbranch_execz .LBB71_45
; %bb.34:
	s_and_b32 vcc_lo, exec_lo, s4
	s_cbranch_vccz .LBB71_40
; %bb.35:
	s_and_b32 vcc_lo, exec_lo, s1
	s_mov_b32 s5, -1
	s_cbranch_vccz .LBB71_37
; %bb.36:
	v_lshl_add_u64 v[10:11], v[2:3], 2, v[8:9]
	v_mul_lo_u32 v13, v4, s33
	s_mov_b32 s5, 0
	global_load_b32 v12, v[10:11], off
	s_wait_loadcnt 0x0
	v_mad_u32 v12, v12, s34, v13
	global_store_b32 v[10:11], v12, off
.LBB71_37:
	s_and_not1_b32 vcc_lo, exec_lo, s5
	s_cbranch_vccnz .LBB71_39
; %bb.38:
	s_wait_xcnt 0x0
	v_mul_u64_e32 v[10:11], s[2:3], v[2:3]
	v_mul_lo_u32 v13, v4, s33
	s_delay_alu instid0(VALU_DEP_2)
	v_lshl_add_u64 v[10:11], v[10:11], 2, v[6:7]
	global_load_b32 v12, v[10:11], off
	s_wait_loadcnt 0x0
	v_mad_u32 v12, v12, s34, v13
	global_store_b32 v[10:11], v12, off
.LBB71_39:
	s_cbranch_execz .LBB71_41
	s_branch .LBB71_45
.LBB71_40:
.LBB71_41:
	v_mul_lo_u32 v4, v4, s33
	s_and_b32 vcc_lo, exec_lo, s1
	s_mov_b32 s5, -1
	s_cbranch_vccz .LBB71_43
; %bb.42:
	s_wait_xcnt 0x0
	v_lshl_add_u64 v[10:11], v[2:3], 2, v[8:9]
	s_mov_b32 s5, 0
	global_store_b32 v[10:11], v4, off
.LBB71_43:
	s_and_not1_b32 vcc_lo, exec_lo, s5
	s_cbranch_vccnz .LBB71_45
; %bb.44:
	v_mul_u64_e32 v[2:3], s[2:3], v[2:3]
	s_delay_alu instid0(VALU_DEP_1)
	v_lshl_add_u64 v[2:3], v[2:3], 2, v[6:7]
	global_store_b32 v[2:3], v4, off
.LBB71_45:
	s_wait_xcnt 0x0
	s_or_b32 exec_lo, exec_lo, s0
	v_cmp_gt_i64_e32 vcc_lo, s[6:7], v[0:1]
	s_and_b32 exec_lo, exec_lo, vcc_lo
	s_cbranch_execz .LBB71_52
; %bb.46:
	v_cndmask_b32_e64 v2, 0, 1, s1
	s_and_not1_b32 vcc_lo, exec_lo, s4
	s_delay_alu instid0(VALU_DEP_1)
	v_cmp_ne_u32_e64 s0, 1, v2
	s_cbranch_vccnz .LBB71_53
; %bb.47:
	s_and_b32 vcc_lo, exec_lo, s0
	s_mov_b32 s0, -1
	s_cbranch_vccnz .LBB71_49
; %bb.48:
	v_lshl_add_u64 v[2:3], v[0:1], 2, v[8:9]
	v_mul_lo_u32 v10, v5, s33
	s_mov_b32 s0, 0
	global_load_b32 v4, v[2:3], off
	s_wait_loadcnt 0x0
	v_mad_u32 v4, v4, s34, v10
	global_store_b32 v[2:3], v4, off
.LBB71_49:
	s_and_not1_b32 vcc_lo, exec_lo, s0
	s_cbranch_vccnz .LBB71_51
; %bb.50:
	s_wait_xcnt 0x0
	v_mul_u64_e32 v[2:3], s[2:3], v[0:1]
	v_mul_lo_u32 v10, v5, s33
	s_delay_alu instid0(VALU_DEP_2)
	v_lshl_add_u64 v[2:3], v[2:3], 2, v[6:7]
	global_load_b32 v4, v[2:3], off
	s_wait_loadcnt 0x0
	v_mad_u32 v4, v4, s34, v10
	global_store_b32 v[2:3], v4, off
.LBB71_51:
	s_cbranch_execz .LBB71_54
.LBB71_52:
	s_endpgm
.LBB71_53:
.LBB71_54:
	s_wait_xcnt 0x0
	v_mul_lo_u32 v2, v5, s33
	s_and_not1_b32 vcc_lo, exec_lo, s1
	s_mov_b32 s0, -1
	s_cbranch_vccnz .LBB71_56
; %bb.55:
	v_lshl_add_u64 v[4:5], v[0:1], 2, v[8:9]
	s_mov_b32 s0, 0
	global_store_b32 v[4:5], v2, off
.LBB71_56:
	s_and_not1_b32 vcc_lo, exec_lo, s0
	s_cbranch_vccnz .LBB71_52
; %bb.57:
	v_mul_u64_e32 v[0:1], s[2:3], v[0:1]
	s_delay_alu instid0(VALU_DEP_1)
	v_lshl_add_u64 v[0:1], v[0:1], 2, v[6:7]
	global_store_b32 v[0:1], v2, off
	s_endpgm
	.section	.rodata,"a",@progbits
	.p2align	6, 0x0
	.amdhsa_kernel _ZN9rocsparseL31bsrmm_large_blockdim_kernel_extILj32ELj32ELj2EllaaiiEEvb20rocsparse_direction_T3_S2_llNS_24const_host_device_scalarIT7_EEPKT2_PKS2_PKT4_S2_PKT5_llS5_PT6_ll16rocsparse_order_21rocsparse_index_base_b
		.amdhsa_group_segment_fixed_size 12288
		.amdhsa_private_segment_fixed_size 0
		.amdhsa_kernarg_size 148
		.amdhsa_user_sgpr_count 2
		.amdhsa_user_sgpr_dispatch_ptr 0
		.amdhsa_user_sgpr_queue_ptr 0
		.amdhsa_user_sgpr_kernarg_segment_ptr 1
		.amdhsa_user_sgpr_dispatch_id 0
		.amdhsa_user_sgpr_kernarg_preload_length 0
		.amdhsa_user_sgpr_kernarg_preload_offset 0
		.amdhsa_user_sgpr_private_segment_size 0
		.amdhsa_wavefront_size32 1
		.amdhsa_uses_dynamic_stack 0
		.amdhsa_enable_private_segment 0
		.amdhsa_system_sgpr_workgroup_id_x 1
		.amdhsa_system_sgpr_workgroup_id_y 1
		.amdhsa_system_sgpr_workgroup_id_z 0
		.amdhsa_system_sgpr_workgroup_info 0
		.amdhsa_system_vgpr_workitem_id 1
		.amdhsa_next_free_vgpr 30
		.amdhsa_next_free_sgpr 40
		.amdhsa_named_barrier_count 0
		.amdhsa_reserve_vcc 1
		.amdhsa_float_round_mode_32 0
		.amdhsa_float_round_mode_16_64 0
		.amdhsa_float_denorm_mode_32 3
		.amdhsa_float_denorm_mode_16_64 3
		.amdhsa_fp16_overflow 0
		.amdhsa_memory_ordered 1
		.amdhsa_forward_progress 1
		.amdhsa_inst_pref_size 15
		.amdhsa_round_robin_scheduling 0
		.amdhsa_exception_fp_ieee_invalid_op 0
		.amdhsa_exception_fp_denorm_src 0
		.amdhsa_exception_fp_ieee_div_zero 0
		.amdhsa_exception_fp_ieee_overflow 0
		.amdhsa_exception_fp_ieee_underflow 0
		.amdhsa_exception_fp_ieee_inexact 0
		.amdhsa_exception_int_div_zero 0
	.end_amdhsa_kernel
	.section	.text._ZN9rocsparseL31bsrmm_large_blockdim_kernel_extILj32ELj32ELj2EllaaiiEEvb20rocsparse_direction_T3_S2_llNS_24const_host_device_scalarIT7_EEPKT2_PKS2_PKT4_S2_PKT5_llS5_PT6_ll16rocsparse_order_21rocsparse_index_base_b,"axG",@progbits,_ZN9rocsparseL31bsrmm_large_blockdim_kernel_extILj32ELj32ELj2EllaaiiEEvb20rocsparse_direction_T3_S2_llNS_24const_host_device_scalarIT7_EEPKT2_PKS2_PKT4_S2_PKT5_llS5_PT6_ll16rocsparse_order_21rocsparse_index_base_b,comdat
.Lfunc_end71:
	.size	_ZN9rocsparseL31bsrmm_large_blockdim_kernel_extILj32ELj32ELj2EllaaiiEEvb20rocsparse_direction_T3_S2_llNS_24const_host_device_scalarIT7_EEPKT2_PKS2_PKT4_S2_PKT5_llS5_PT6_ll16rocsparse_order_21rocsparse_index_base_b, .Lfunc_end71-_ZN9rocsparseL31bsrmm_large_blockdim_kernel_extILj32ELj32ELj2EllaaiiEEvb20rocsparse_direction_T3_S2_llNS_24const_host_device_scalarIT7_EEPKT2_PKS2_PKT4_S2_PKT5_llS5_PT6_ll16rocsparse_order_21rocsparse_index_base_b
                                        ; -- End function
	.set _ZN9rocsparseL31bsrmm_large_blockdim_kernel_extILj32ELj32ELj2EllaaiiEEvb20rocsparse_direction_T3_S2_llNS_24const_host_device_scalarIT7_EEPKT2_PKS2_PKT4_S2_PKT5_llS5_PT6_ll16rocsparse_order_21rocsparse_index_base_b.num_vgpr, 30
	.set _ZN9rocsparseL31bsrmm_large_blockdim_kernel_extILj32ELj32ELj2EllaaiiEEvb20rocsparse_direction_T3_S2_llNS_24const_host_device_scalarIT7_EEPKT2_PKS2_PKT4_S2_PKT5_llS5_PT6_ll16rocsparse_order_21rocsparse_index_base_b.num_agpr, 0
	.set _ZN9rocsparseL31bsrmm_large_blockdim_kernel_extILj32ELj32ELj2EllaaiiEEvb20rocsparse_direction_T3_S2_llNS_24const_host_device_scalarIT7_EEPKT2_PKS2_PKT4_S2_PKT5_llS5_PT6_ll16rocsparse_order_21rocsparse_index_base_b.numbered_sgpr, 40
	.set _ZN9rocsparseL31bsrmm_large_blockdim_kernel_extILj32ELj32ELj2EllaaiiEEvb20rocsparse_direction_T3_S2_llNS_24const_host_device_scalarIT7_EEPKT2_PKS2_PKT4_S2_PKT5_llS5_PT6_ll16rocsparse_order_21rocsparse_index_base_b.num_named_barrier, 0
	.set _ZN9rocsparseL31bsrmm_large_blockdim_kernel_extILj32ELj32ELj2EllaaiiEEvb20rocsparse_direction_T3_S2_llNS_24const_host_device_scalarIT7_EEPKT2_PKS2_PKT4_S2_PKT5_llS5_PT6_ll16rocsparse_order_21rocsparse_index_base_b.private_seg_size, 0
	.set _ZN9rocsparseL31bsrmm_large_blockdim_kernel_extILj32ELj32ELj2EllaaiiEEvb20rocsparse_direction_T3_S2_llNS_24const_host_device_scalarIT7_EEPKT2_PKS2_PKT4_S2_PKT5_llS5_PT6_ll16rocsparse_order_21rocsparse_index_base_b.uses_vcc, 1
	.set _ZN9rocsparseL31bsrmm_large_blockdim_kernel_extILj32ELj32ELj2EllaaiiEEvb20rocsparse_direction_T3_S2_llNS_24const_host_device_scalarIT7_EEPKT2_PKS2_PKT4_S2_PKT5_llS5_PT6_ll16rocsparse_order_21rocsparse_index_base_b.uses_flat_scratch, 0
	.set _ZN9rocsparseL31bsrmm_large_blockdim_kernel_extILj32ELj32ELj2EllaaiiEEvb20rocsparse_direction_T3_S2_llNS_24const_host_device_scalarIT7_EEPKT2_PKS2_PKT4_S2_PKT5_llS5_PT6_ll16rocsparse_order_21rocsparse_index_base_b.has_dyn_sized_stack, 0
	.set _ZN9rocsparseL31bsrmm_large_blockdim_kernel_extILj32ELj32ELj2EllaaiiEEvb20rocsparse_direction_T3_S2_llNS_24const_host_device_scalarIT7_EEPKT2_PKS2_PKT4_S2_PKT5_llS5_PT6_ll16rocsparse_order_21rocsparse_index_base_b.has_recursion, 0
	.set _ZN9rocsparseL31bsrmm_large_blockdim_kernel_extILj32ELj32ELj2EllaaiiEEvb20rocsparse_direction_T3_S2_llNS_24const_host_device_scalarIT7_EEPKT2_PKS2_PKT4_S2_PKT5_llS5_PT6_ll16rocsparse_order_21rocsparse_index_base_b.has_indirect_call, 0
	.section	.AMDGPU.csdata,"",@progbits
; Kernel info:
; codeLenInByte = 1896
; TotalNumSgprs: 42
; NumVgprs: 30
; ScratchSize: 0
; MemoryBound: 0
; FloatMode: 240
; IeeeMode: 1
; LDSByteSize: 12288 bytes/workgroup (compile time only)
; SGPRBlocks: 0
; VGPRBlocks: 1
; NumSGPRsForWavesPerEU: 42
; NumVGPRsForWavesPerEU: 30
; NamedBarCnt: 0
; Occupancy: 16
; WaveLimiterHint : 1
; COMPUTE_PGM_RSRC2:SCRATCH_EN: 0
; COMPUTE_PGM_RSRC2:USER_SGPR: 2
; COMPUTE_PGM_RSRC2:TRAP_HANDLER: 0
; COMPUTE_PGM_RSRC2:TGID_X_EN: 1
; COMPUTE_PGM_RSRC2:TGID_Y_EN: 1
; COMPUTE_PGM_RSRC2:TGID_Z_EN: 0
; COMPUTE_PGM_RSRC2:TIDIG_COMP_CNT: 1
	.section	.text._ZN9rocsparseL31bsrmm_large_blockdim_kernel_extILj8ELj8ELj2EiiaaffEEvb20rocsparse_direction_T3_S2_llNS_24const_host_device_scalarIT7_EEPKT2_PKS2_PKT4_S2_PKT5_llS5_PT6_ll16rocsparse_order_21rocsparse_index_base_b,"axG",@progbits,_ZN9rocsparseL31bsrmm_large_blockdim_kernel_extILj8ELj8ELj2EiiaaffEEvb20rocsparse_direction_T3_S2_llNS_24const_host_device_scalarIT7_EEPKT2_PKS2_PKT4_S2_PKT5_llS5_PT6_ll16rocsparse_order_21rocsparse_index_base_b,comdat
	.globl	_ZN9rocsparseL31bsrmm_large_blockdim_kernel_extILj8ELj8ELj2EiiaaffEEvb20rocsparse_direction_T3_S2_llNS_24const_host_device_scalarIT7_EEPKT2_PKS2_PKT4_S2_PKT5_llS5_PT6_ll16rocsparse_order_21rocsparse_index_base_b ; -- Begin function _ZN9rocsparseL31bsrmm_large_blockdim_kernel_extILj8ELj8ELj2EiiaaffEEvb20rocsparse_direction_T3_S2_llNS_24const_host_device_scalarIT7_EEPKT2_PKS2_PKT4_S2_PKT5_llS5_PT6_ll16rocsparse_order_21rocsparse_index_base_b
	.p2align	8
	.type	_ZN9rocsparseL31bsrmm_large_blockdim_kernel_extILj8ELj8ELj2EiiaaffEEvb20rocsparse_direction_T3_S2_llNS_24const_host_device_scalarIT7_EEPKT2_PKS2_PKT4_S2_PKT5_llS5_PT6_ll16rocsparse_order_21rocsparse_index_base_b,@function
_ZN9rocsparseL31bsrmm_large_blockdim_kernel_extILj8ELj8ELj2EiiaaffEEvb20rocsparse_direction_T3_S2_llNS_24const_host_device_scalarIT7_EEPKT2_PKS2_PKT4_S2_PKT5_llS5_PT6_ll16rocsparse_order_21rocsparse_index_base_b: ; @_ZN9rocsparseL31bsrmm_large_blockdim_kernel_extILj8ELj8ELj2EiiaaffEEvb20rocsparse_direction_T3_S2_llNS_24const_host_device_scalarIT7_EEPKT2_PKS2_PKT4_S2_PKT5_llS5_PT6_ll16rocsparse_order_21rocsparse_index_base_b
; %bb.0:
	s_clause 0x2
	s_load_b96 s[20:22], s[0:1], 0x80
	s_load_b64 s[6:7], s[0:1], 0x20
	s_load_b64 s[24:25], s[0:1], 0x60
	s_wait_kmcnt 0x0
	s_bitcmp1_b32 s22, 0
	s_cselect_b32 s2, -1, 0
	s_delay_alu instid0(SALU_CYCLE_1)
	s_and_b32 vcc_lo, exec_lo, s2
	s_xor_b32 s2, s2, -1
	s_cbranch_vccnz .LBB72_2
; %bb.1:
	s_load_b32 s6, s[6:7], 0x0
.LBB72_2:
	s_and_not1_b32 vcc_lo, exec_lo, s2
	s_cbranch_vccnz .LBB72_4
; %bb.3:
	s_load_b32 s24, s[24:25], 0x0
.LBB72_4:
	s_wait_kmcnt 0x0
	s_cmp_eq_f32 s6, 0
	s_mov_b32 s26, 0
	s_cselect_b32 s2, -1, 0
	s_cmp_eq_f32 s24, 1.0
	s_cselect_b32 s3, -1, 0
	s_delay_alu instid0(SALU_CYCLE_1) | instskip(NEXT) | instid1(SALU_CYCLE_1)
	s_and_b32 s2, s2, s3
	s_and_b32 vcc_lo, exec_lo, s2
	s_cbranch_vccnz .LBB72_48
; %bb.5:
	s_clause 0x1
	s_load_b128 s[8:11], s[0:1], 0x0
	s_load_b64 s[2:3], s[0:1], 0x28
	s_bfe_u32 s4, ttmp6, 0x4000c
	s_and_b32 s5, ttmp6, 15
	s_add_co_i32 s4, s4, 1
	s_delay_alu instid0(SALU_CYCLE_1)
	s_mul_i32 s7, ttmp9, s4
	s_getreg_b32 s4, hwreg(HW_REG_IB_STS2, 6, 4)
	s_add_co_i32 s5, s5, s7
	s_cmp_eq_u32 s4, 0
	s_cselect_b32 s22, ttmp9, s5
	s_wait_kmcnt 0x0
	s_cmp_lt_i32 s22, s10
	s_cselect_b32 s7, -1, 0
	s_cmp_ge_i32 s22, s10
	s_cbranch_scc1 .LBB72_7
; %bb.6:
	s_ashr_i32 s23, s22, 31
	s_delay_alu instid0(SALU_CYCLE_1) | instskip(NEXT) | instid1(SALU_CYCLE_1)
	s_lshl_b64 s[12:13], s[22:23], 2
	s_add_nc_u64 s[12:13], s[2:3], s[12:13]
	s_load_b32 s5, s[12:13], 0x0
	s_wait_kmcnt 0x0
	s_sub_co_i32 s26, s5, s21
.LBB72_7:
	s_and_not1_b32 vcc_lo, exec_lo, s7
	s_mov_b32 s23, 0
	s_cbranch_vccnz .LBB72_9
; %bb.8:
	s_ashr_i32 s23, s22, 31
	s_delay_alu instid0(SALU_CYCLE_1) | instskip(NEXT) | instid1(SALU_CYCLE_1)
	s_lshl_b64 s[12:13], s[22:23], 2
	s_add_nc_u64 s[2:3], s[2:3], s[12:13]
	s_load_b32 s2, s[2:3], 0x4
	s_wait_kmcnt 0x0
	s_sub_co_i32 s23, s2, s21
.LBB72_9:
	s_bfe_u32 s2, ttmp6, 0x40010
	s_bfe_u32 s3, ttmp6, 0x40004
	s_add_co_i32 s2, s2, 1
	s_load_b32 s10, s[0:1], 0x40
	s_mul_i32 s2, ttmp7, s2
	v_bfe_u32 v2, v0, 10, 10
	s_add_co_i32 s3, s3, s2
	s_cmp_eq_u32 s4, 0
	v_and_b32_e32 v14, 0x3ff, v0
	s_cselect_b32 s2, ttmp7, s3
	s_cmp_ge_i32 s26, s23
	v_lshl_add_u32 v4, s2, 4, v2
	s_delay_alu instid0(VALU_DEP_1) | instskip(SKIP_1) | instid1(VALU_DEP_2)
	v_add_nc_u32_e32 v0, 8, v4
	v_cmp_gt_i32_e64 s2, s11, v4
	v_cmp_gt_i32_e64 s3, s11, v0
	s_wait_kmcnt 0x0
	v_cmp_gt_i32_e32 vcc_lo, s10, v14
	s_cbranch_scc1 .LBB72_27
; %bb.10:
	s_clause 0x1
	s_load_b128 s[12:15], s[0:1], 0x48
	s_load_b128 s[16:19], s[0:1], 0x30
	v_dual_ashrrev_i32 v5, 31, v4 :: v_dual_lshlrev_b32 v15, 5, v2
	v_dual_ashrrev_i32 v1, 31, v0 :: v_dual_lshlrev_b32 v12, 5, v14
	v_cmp_gt_i32_e64 s4, s10, v2
	v_mad_u32 v3, s10, v2, v14
	v_mad_u32 v10, s10, v14, v2
	v_lshl_add_u32 v11, v2, 2, 0x200
	v_lshlrev_b32_e32 v13, 2, v14
	s_and_b32 s25, vcc_lo, s4
	s_bitcmp1_b32 s8, 0
	v_add_nc_u32_e32 v17, 0x200, v12
	s_cselect_b32 s4, -1, 0
	s_cmp_eq_u32 s9, 0
	v_add_nc_u32_e32 v20, v11, v12
	s_cselect_b32 s5, -1, 0
	v_add_nc_u32_e32 v18, 0x100, v15
	v_dual_cndmask_b32 v16, v3, v10, s5 :: v_dual_add_nc_u32 v19, v13, v15
	s_wait_kmcnt 0x0
	v_mul_u64_e32 v[6:7], s[14:15], v[4:5]
	v_mul_u64_e32 v[8:9], s[14:15], v[0:1]
	v_mov_b64_e32 v[2:3], 0
	s_mul_i32 s5, s10, s10
	s_branch .LBB72_13
.LBB72_11:                              ;   in Loop: Header=BB72_13 Depth=1
	s_or_b32 exec_lo, exec_lo, s9
.LBB72_12:                              ;   in Loop: Header=BB72_13 Depth=1
	s_delay_alu instid0(SALU_CYCLE_1) | instskip(SKIP_1) | instid1(SALU_CYCLE_1)
	s_or_b32 exec_lo, exec_lo, s8
	s_add_co_i32 s26, s26, 1
	s_cmp_ge_i32 s26, s23
	s_barrier_signal -1
	s_barrier_wait -1
	s_cbranch_scc1 .LBB72_28
.LBB72_13:                              ; =>This Loop Header: Depth=1
                                        ;     Child Loop BB72_23 Depth 2
                                        ;     Child Loop BB72_26 Depth 2
	s_and_saveexec_b32 s8, vcc_lo
	s_cbranch_execz .LBB72_18
; %bb.14:                               ;   in Loop: Header=BB72_13 Depth=1
	s_ashr_i32 s27, s26, 31
	s_delay_alu instid0(SALU_CYCLE_1) | instskip(NEXT) | instid1(SALU_CYCLE_1)
	s_lshl_b64 s[28:29], s[26:27], 2
	s_add_nc_u64 s[28:29], s[16:17], s[28:29]
	s_load_b32 s9, s[28:29], 0x0
	s_wait_kmcnt 0x0
	s_sub_co_i32 s9, s9, s21
	s_delay_alu instid0(SALU_CYCLE_1) | instskip(NEXT) | instid1(VALU_DEP_1)
	v_mad_u32 v12, s9, s10, v14
	v_mad_nc_u64_u32 v[10:11], s14, v12, s[12:13]
	v_ashrrev_i32_e32 v13, 31, v12
	s_delay_alu instid0(VALU_DEP_2) | instskip(NEXT) | instid1(VALU_DEP_1)
	v_mad_u32 v11, s15, v12, v11
	v_mad_u32 v11, s14, v13, v11
	v_add_nc_u64_e32 v[12:13], s[12:13], v[12:13]
	s_and_saveexec_b32 s9, s2
	s_cbranch_execz .LBB72_16
; %bb.15:                               ;   in Loop: Header=BB72_13 Depth=1
	s_delay_alu instid0(VALU_DEP_2) | instskip(NEXT) | instid1(VALU_DEP_2)
	v_add_nc_u64_e32 v[22:23], v[10:11], v[4:5]
	v_add_nc_u64_e32 v[24:25], v[12:13], v[6:7]
	s_delay_alu instid0(VALU_DEP_1)
	v_dual_cndmask_b32 v23, v23, v25, s4 :: v_dual_cndmask_b32 v22, v22, v24, s4
	global_load_i8 v21, v[22:23], off
	s_wait_loadcnt 0x0
	v_cvt_f32_i32_e32 v21, v21
	ds_store_b32 v19, v21
.LBB72_16:                              ;   in Loop: Header=BB72_13 Depth=1
	s_or_b32 exec_lo, exec_lo, s9
	s_delay_alu instid0(SALU_CYCLE_1)
	s_and_b32 exec_lo, exec_lo, s3
	s_cbranch_execz .LBB72_18
; %bb.17:                               ;   in Loop: Header=BB72_13 Depth=1
	s_delay_alu instid0(VALU_DEP_1) | instskip(NEXT) | instid1(VALU_DEP_3)
	v_add_nc_u64_e32 v[12:13], v[12:13], v[8:9]
	v_add_nc_u64_e32 v[10:11], v[10:11], v[0:1]
	s_delay_alu instid0(VALU_DEP_1)
	v_dual_cndmask_b32 v11, v11, v13, s4 :: v_dual_cndmask_b32 v10, v10, v12, s4
	global_load_i8 v10, v[10:11], off
	s_wait_loadcnt 0x0
	v_cvt_f32_i32_e32 v10, v10
	ds_store_b32 v19, v10 offset:256
.LBB72_18:                              ;   in Loop: Header=BB72_13 Depth=1
	s_or_b32 exec_lo, exec_lo, s8
	s_and_saveexec_b32 s8, s25
	s_cbranch_execz .LBB72_20
; %bb.19:                               ;   in Loop: Header=BB72_13 Depth=1
	v_mad_u32 v10, s5, s26, v16
	global_load_i8 v10, v10, s[18:19]
	s_wait_loadcnt 0x0
	v_cvt_f32_i32_e32 v10, v10
	ds_store_b32 v20, v10
.LBB72_20:                              ;   in Loop: Header=BB72_13 Depth=1
	s_or_b32 exec_lo, exec_lo, s8
	s_wait_dscnt 0x0
	s_barrier_signal -1
	s_barrier_wait -1
	s_and_saveexec_b32 s8, vcc_lo
	s_cbranch_execz .LBB72_12
; %bb.21:                               ;   in Loop: Header=BB72_13 Depth=1
	s_and_saveexec_b32 s9, s2
	s_cbranch_execz .LBB72_24
; %bb.22:                               ;   in Loop: Header=BB72_13 Depth=1
	v_dual_mov_b32 v10, v17 :: v_dual_mov_b32 v11, v15
	s_mov_b32 s27, s10
.LBB72_23:                              ;   Parent Loop BB72_13 Depth=1
                                        ; =>  This Inner Loop Header: Depth=2
	ds_load_b32 v12, v10
	ds_load_b32 v13, v11
	v_dual_add_nc_u32 v11, 4, v11 :: v_dual_add_nc_u32 v10, 4, v10
	s_add_co_i32 s27, s27, -1
	s_delay_alu instid0(SALU_CYCLE_1)
	s_cmp_lg_u32 s27, 0
	s_wait_dscnt 0x0
	v_fma_f32 v2, v12, v13, v2
	s_cbranch_scc1 .LBB72_23
.LBB72_24:                              ;   in Loop: Header=BB72_13 Depth=1
	s_or_b32 exec_lo, exec_lo, s9
	s_and_saveexec_b32 s9, s3
	s_cbranch_execz .LBB72_11
; %bb.25:                               ;   in Loop: Header=BB72_13 Depth=1
	v_dual_mov_b32 v10, v17 :: v_dual_mov_b32 v11, v18
	s_mov_b32 s27, s10
.LBB72_26:                              ;   Parent Loop BB72_13 Depth=1
                                        ; =>  This Inner Loop Header: Depth=2
	ds_load_b32 v12, v10
	ds_load_b32 v13, v11
	v_dual_add_nc_u32 v11, 4, v11 :: v_dual_add_nc_u32 v10, 4, v10
	s_add_co_i32 s27, s27, -1
	s_delay_alu instid0(SALU_CYCLE_1)
	s_cmp_lg_u32 s27, 0
	s_wait_dscnt 0x0
	v_fma_f32 v3, v12, v13, v3
	s_cbranch_scc1 .LBB72_26
	s_branch .LBB72_11
.LBB72_27:
	v_mov_b64_e32 v[2:3], 0
.LBB72_28:
	s_load_b64 s[4:5], s[0:1], 0x68
	s_and_b32 s2, s7, vcc_lo
	s_delay_alu instid0(SALU_CYCLE_1)
	s_and_saveexec_b32 s3, s2
	s_cbranch_execz .LBB72_48
; %bb.29:
	s_load_b64 s[2:3], s[0:1], 0x70
	v_mad_u32 v6, s10, s22, v14
	s_cmp_neq_f32 s24, 0
	s_wait_xcnt 0x0
	s_mov_b32 s0, exec_lo
	s_cselect_b32 s7, -1, 0
	s_cmp_lg_u32 s20, 1
	s_cselect_b32 s1, -1, 0
	s_delay_alu instid0(VALU_DEP_1) | instskip(SKIP_1) | instid1(VALU_DEP_1)
	v_ashrrev_i32_e32 v7, 31, v6
	s_wait_kmcnt 0x0
	v_mul_u64_e32 v[8:9], s[2:3], v[6:7]
	v_lshl_add_u64 v[6:7], v[6:7], 2, s[4:5]
	s_delay_alu instid0(VALU_DEP_2)
	v_lshl_add_u64 v[8:9], v[8:9], 2, s[4:5]
	v_cmpx_gt_i32_e64 s11, v4
	s_cbranch_execz .LBB72_41
; %bb.30:
	v_ashrrev_i32_e32 v5, 31, v4
	s_and_b32 vcc_lo, exec_lo, s7
	s_cbranch_vccz .LBB72_36
; %bb.31:
	s_and_b32 vcc_lo, exec_lo, s1
	s_mov_b32 s4, -1
	s_cbranch_vccz .LBB72_33
; %bb.32:
	v_lshl_add_u64 v[10:11], v[4:5], 2, v[8:9]
	v_mul_f32_e32 v12, s6, v2
	s_mov_b32 s4, 0
	global_load_b32 v1, v[10:11], off
	s_wait_loadcnt 0x0
	v_fmac_f32_e32 v12, s24, v1
	global_store_b32 v[10:11], v12, off
.LBB72_33:
	s_and_not1_b32 vcc_lo, exec_lo, s4
	s_cbranch_vccnz .LBB72_35
; %bb.34:
	s_wait_xcnt 0x0
	v_mul_u64_e32 v[10:11], s[2:3], v[4:5]
	v_mul_f32_e32 v12, s6, v2
	s_delay_alu instid0(VALU_DEP_2)
	v_lshl_add_u64 v[10:11], v[10:11], 2, v[6:7]
	global_load_b32 v1, v[10:11], off
	s_wait_loadcnt 0x0
	v_fmac_f32_e32 v12, s24, v1
	global_store_b32 v[10:11], v12, off
.LBB72_35:
	s_cbranch_execz .LBB72_37
	s_branch .LBB72_41
.LBB72_36:
.LBB72_37:
	v_mul_f32_e32 v1, s6, v2
	s_and_b32 vcc_lo, exec_lo, s1
	s_mov_b32 s4, -1
	s_cbranch_vccz .LBB72_39
; %bb.38:
	s_wait_xcnt 0x0
	v_lshl_add_u64 v[10:11], v[4:5], 2, v[8:9]
	s_mov_b32 s4, 0
	global_store_b32 v[10:11], v1, off
.LBB72_39:
	s_and_not1_b32 vcc_lo, exec_lo, s4
	s_cbranch_vccnz .LBB72_41
; %bb.40:
	v_mul_u64_e32 v[4:5], s[2:3], v[4:5]
	s_delay_alu instid0(VALU_DEP_1)
	v_lshl_add_u64 v[4:5], v[4:5], 2, v[6:7]
	global_store_b32 v[4:5], v1, off
.LBB72_41:
	s_wait_xcnt 0x0
	s_or_b32 exec_lo, exec_lo, s0
	v_cmp_gt_i32_e32 vcc_lo, s11, v0
	s_and_b32 exec_lo, exec_lo, vcc_lo
	s_cbranch_execz .LBB72_48
; %bb.42:
	v_cndmask_b32_e64 v2, 0, 1, s1
	v_ashrrev_i32_e32 v1, 31, v0
	s_and_not1_b32 vcc_lo, exec_lo, s7
	s_delay_alu instid0(VALU_DEP_2)
	v_cmp_ne_u32_e64 s0, 1, v2
	s_cbranch_vccnz .LBB72_49
; %bb.43:
	s_and_b32 vcc_lo, exec_lo, s0
	s_mov_b32 s0, -1
	s_cbranch_vccnz .LBB72_45
; %bb.44:
	v_lshl_add_u64 v[4:5], v[0:1], 2, v[8:9]
	v_mul_f32_e32 v10, s6, v3
	s_mov_b32 s0, 0
	global_load_b32 v2, v[4:5], off
	s_wait_loadcnt 0x0
	v_fmac_f32_e32 v10, s24, v2
	global_store_b32 v[4:5], v10, off
.LBB72_45:
	s_and_not1_b32 vcc_lo, exec_lo, s0
	s_cbranch_vccnz .LBB72_47
; %bb.46:
	s_wait_xcnt 0x0
	v_mul_u64_e32 v[4:5], s[2:3], v[0:1]
	v_mul_f32_e32 v10, s6, v3
	s_delay_alu instid0(VALU_DEP_2)
	v_lshl_add_u64 v[4:5], v[4:5], 2, v[6:7]
	global_load_b32 v2, v[4:5], off
	s_wait_loadcnt 0x0
	v_fmac_f32_e32 v10, s24, v2
	global_store_b32 v[4:5], v10, off
.LBB72_47:
	s_cbranch_execz .LBB72_50
.LBB72_48:
	s_endpgm
.LBB72_49:
.LBB72_50:
	v_mul_f32_e32 v2, s6, v3
	s_and_not1_b32 vcc_lo, exec_lo, s1
	s_mov_b32 s0, -1
	s_cbranch_vccnz .LBB72_52
; %bb.51:
	s_wait_xcnt 0x0
	v_lshl_add_u64 v[4:5], v[0:1], 2, v[8:9]
	s_mov_b32 s0, 0
	global_store_b32 v[4:5], v2, off
.LBB72_52:
	s_and_not1_b32 vcc_lo, exec_lo, s0
	s_cbranch_vccnz .LBB72_48
; %bb.53:
	v_mul_u64_e32 v[0:1], s[2:3], v[0:1]
	s_delay_alu instid0(VALU_DEP_1)
	v_lshl_add_u64 v[0:1], v[0:1], 2, v[6:7]
	global_store_b32 v[0:1], v2, off
	s_endpgm
	.section	.rodata,"a",@progbits
	.p2align	6, 0x0
	.amdhsa_kernel _ZN9rocsparseL31bsrmm_large_blockdim_kernel_extILj8ELj8ELj2EiiaaffEEvb20rocsparse_direction_T3_S2_llNS_24const_host_device_scalarIT7_EEPKT2_PKS2_PKT4_S2_PKT5_llS5_PT6_ll16rocsparse_order_21rocsparse_index_base_b
		.amdhsa_group_segment_fixed_size 768
		.amdhsa_private_segment_fixed_size 0
		.amdhsa_kernarg_size 140
		.amdhsa_user_sgpr_count 2
		.amdhsa_user_sgpr_dispatch_ptr 0
		.amdhsa_user_sgpr_queue_ptr 0
		.amdhsa_user_sgpr_kernarg_segment_ptr 1
		.amdhsa_user_sgpr_dispatch_id 0
		.amdhsa_user_sgpr_kernarg_preload_length 0
		.amdhsa_user_sgpr_kernarg_preload_offset 0
		.amdhsa_user_sgpr_private_segment_size 0
		.amdhsa_wavefront_size32 1
		.amdhsa_uses_dynamic_stack 0
		.amdhsa_enable_private_segment 0
		.amdhsa_system_sgpr_workgroup_id_x 1
		.amdhsa_system_sgpr_workgroup_id_y 1
		.amdhsa_system_sgpr_workgroup_id_z 0
		.amdhsa_system_sgpr_workgroup_info 0
		.amdhsa_system_vgpr_workitem_id 1
		.amdhsa_next_free_vgpr 26
		.amdhsa_next_free_sgpr 30
		.amdhsa_named_barrier_count 0
		.amdhsa_reserve_vcc 1
		.amdhsa_float_round_mode_32 0
		.amdhsa_float_round_mode_16_64 0
		.amdhsa_float_denorm_mode_32 3
		.amdhsa_float_denorm_mode_16_64 3
		.amdhsa_fp16_overflow 0
		.amdhsa_memory_ordered 1
		.amdhsa_forward_progress 1
		.amdhsa_inst_pref_size 13
		.amdhsa_round_robin_scheduling 0
		.amdhsa_exception_fp_ieee_invalid_op 0
		.amdhsa_exception_fp_denorm_src 0
		.amdhsa_exception_fp_ieee_div_zero 0
		.amdhsa_exception_fp_ieee_overflow 0
		.amdhsa_exception_fp_ieee_underflow 0
		.amdhsa_exception_fp_ieee_inexact 0
		.amdhsa_exception_int_div_zero 0
	.end_amdhsa_kernel
	.section	.text._ZN9rocsparseL31bsrmm_large_blockdim_kernel_extILj8ELj8ELj2EiiaaffEEvb20rocsparse_direction_T3_S2_llNS_24const_host_device_scalarIT7_EEPKT2_PKS2_PKT4_S2_PKT5_llS5_PT6_ll16rocsparse_order_21rocsparse_index_base_b,"axG",@progbits,_ZN9rocsparseL31bsrmm_large_blockdim_kernel_extILj8ELj8ELj2EiiaaffEEvb20rocsparse_direction_T3_S2_llNS_24const_host_device_scalarIT7_EEPKT2_PKS2_PKT4_S2_PKT5_llS5_PT6_ll16rocsparse_order_21rocsparse_index_base_b,comdat
.Lfunc_end72:
	.size	_ZN9rocsparseL31bsrmm_large_blockdim_kernel_extILj8ELj8ELj2EiiaaffEEvb20rocsparse_direction_T3_S2_llNS_24const_host_device_scalarIT7_EEPKT2_PKS2_PKT4_S2_PKT5_llS5_PT6_ll16rocsparse_order_21rocsparse_index_base_b, .Lfunc_end72-_ZN9rocsparseL31bsrmm_large_blockdim_kernel_extILj8ELj8ELj2EiiaaffEEvb20rocsparse_direction_T3_S2_llNS_24const_host_device_scalarIT7_EEPKT2_PKS2_PKT4_S2_PKT5_llS5_PT6_ll16rocsparse_order_21rocsparse_index_base_b
                                        ; -- End function
	.set _ZN9rocsparseL31bsrmm_large_blockdim_kernel_extILj8ELj8ELj2EiiaaffEEvb20rocsparse_direction_T3_S2_llNS_24const_host_device_scalarIT7_EEPKT2_PKS2_PKT4_S2_PKT5_llS5_PT6_ll16rocsparse_order_21rocsparse_index_base_b.num_vgpr, 26
	.set _ZN9rocsparseL31bsrmm_large_blockdim_kernel_extILj8ELj8ELj2EiiaaffEEvb20rocsparse_direction_T3_S2_llNS_24const_host_device_scalarIT7_EEPKT2_PKS2_PKT4_S2_PKT5_llS5_PT6_ll16rocsparse_order_21rocsparse_index_base_b.num_agpr, 0
	.set _ZN9rocsparseL31bsrmm_large_blockdim_kernel_extILj8ELj8ELj2EiiaaffEEvb20rocsparse_direction_T3_S2_llNS_24const_host_device_scalarIT7_EEPKT2_PKS2_PKT4_S2_PKT5_llS5_PT6_ll16rocsparse_order_21rocsparse_index_base_b.numbered_sgpr, 30
	.set _ZN9rocsparseL31bsrmm_large_blockdim_kernel_extILj8ELj8ELj2EiiaaffEEvb20rocsparse_direction_T3_S2_llNS_24const_host_device_scalarIT7_EEPKT2_PKS2_PKT4_S2_PKT5_llS5_PT6_ll16rocsparse_order_21rocsparse_index_base_b.num_named_barrier, 0
	.set _ZN9rocsparseL31bsrmm_large_blockdim_kernel_extILj8ELj8ELj2EiiaaffEEvb20rocsparse_direction_T3_S2_llNS_24const_host_device_scalarIT7_EEPKT2_PKS2_PKT4_S2_PKT5_llS5_PT6_ll16rocsparse_order_21rocsparse_index_base_b.private_seg_size, 0
	.set _ZN9rocsparseL31bsrmm_large_blockdim_kernel_extILj8ELj8ELj2EiiaaffEEvb20rocsparse_direction_T3_S2_llNS_24const_host_device_scalarIT7_EEPKT2_PKS2_PKT4_S2_PKT5_llS5_PT6_ll16rocsparse_order_21rocsparse_index_base_b.uses_vcc, 1
	.set _ZN9rocsparseL31bsrmm_large_blockdim_kernel_extILj8ELj8ELj2EiiaaffEEvb20rocsparse_direction_T3_S2_llNS_24const_host_device_scalarIT7_EEPKT2_PKS2_PKT4_S2_PKT5_llS5_PT6_ll16rocsparse_order_21rocsparse_index_base_b.uses_flat_scratch, 0
	.set _ZN9rocsparseL31bsrmm_large_blockdim_kernel_extILj8ELj8ELj2EiiaaffEEvb20rocsparse_direction_T3_S2_llNS_24const_host_device_scalarIT7_EEPKT2_PKS2_PKT4_S2_PKT5_llS5_PT6_ll16rocsparse_order_21rocsparse_index_base_b.has_dyn_sized_stack, 0
	.set _ZN9rocsparseL31bsrmm_large_blockdim_kernel_extILj8ELj8ELj2EiiaaffEEvb20rocsparse_direction_T3_S2_llNS_24const_host_device_scalarIT7_EEPKT2_PKS2_PKT4_S2_PKT5_llS5_PT6_ll16rocsparse_order_21rocsparse_index_base_b.has_recursion, 0
	.set _ZN9rocsparseL31bsrmm_large_blockdim_kernel_extILj8ELj8ELj2EiiaaffEEvb20rocsparse_direction_T3_S2_llNS_24const_host_device_scalarIT7_EEPKT2_PKS2_PKT4_S2_PKT5_llS5_PT6_ll16rocsparse_order_21rocsparse_index_base_b.has_indirect_call, 0
	.section	.AMDGPU.csdata,"",@progbits
; Kernel info:
; codeLenInByte = 1640
; TotalNumSgprs: 32
; NumVgprs: 26
; ScratchSize: 0
; MemoryBound: 0
; FloatMode: 240
; IeeeMode: 1
; LDSByteSize: 768 bytes/workgroup (compile time only)
; SGPRBlocks: 0
; VGPRBlocks: 1
; NumSGPRsForWavesPerEU: 32
; NumVGPRsForWavesPerEU: 26
; NamedBarCnt: 0
; Occupancy: 16
; WaveLimiterHint : 1
; COMPUTE_PGM_RSRC2:SCRATCH_EN: 0
; COMPUTE_PGM_RSRC2:USER_SGPR: 2
; COMPUTE_PGM_RSRC2:TRAP_HANDLER: 0
; COMPUTE_PGM_RSRC2:TGID_X_EN: 1
; COMPUTE_PGM_RSRC2:TGID_Y_EN: 1
; COMPUTE_PGM_RSRC2:TGID_Z_EN: 0
; COMPUTE_PGM_RSRC2:TIDIG_COMP_CNT: 1
	.section	.text._ZN9rocsparseL31bsrmm_large_blockdim_kernel_extILj4ELj16ELj2EiiaaffEEvb20rocsparse_direction_T3_S2_llNS_24const_host_device_scalarIT7_EEPKT2_PKS2_PKT4_S2_PKT5_llS5_PT6_ll16rocsparse_order_21rocsparse_index_base_b,"axG",@progbits,_ZN9rocsparseL31bsrmm_large_blockdim_kernel_extILj4ELj16ELj2EiiaaffEEvb20rocsparse_direction_T3_S2_llNS_24const_host_device_scalarIT7_EEPKT2_PKS2_PKT4_S2_PKT5_llS5_PT6_ll16rocsparse_order_21rocsparse_index_base_b,comdat
	.globl	_ZN9rocsparseL31bsrmm_large_blockdim_kernel_extILj4ELj16ELj2EiiaaffEEvb20rocsparse_direction_T3_S2_llNS_24const_host_device_scalarIT7_EEPKT2_PKS2_PKT4_S2_PKT5_llS5_PT6_ll16rocsparse_order_21rocsparse_index_base_b ; -- Begin function _ZN9rocsparseL31bsrmm_large_blockdim_kernel_extILj4ELj16ELj2EiiaaffEEvb20rocsparse_direction_T3_S2_llNS_24const_host_device_scalarIT7_EEPKT2_PKS2_PKT4_S2_PKT5_llS5_PT6_ll16rocsparse_order_21rocsparse_index_base_b
	.p2align	8
	.type	_ZN9rocsparseL31bsrmm_large_blockdim_kernel_extILj4ELj16ELj2EiiaaffEEvb20rocsparse_direction_T3_S2_llNS_24const_host_device_scalarIT7_EEPKT2_PKS2_PKT4_S2_PKT5_llS5_PT6_ll16rocsparse_order_21rocsparse_index_base_b,@function
_ZN9rocsparseL31bsrmm_large_blockdim_kernel_extILj4ELj16ELj2EiiaaffEEvb20rocsparse_direction_T3_S2_llNS_24const_host_device_scalarIT7_EEPKT2_PKS2_PKT4_S2_PKT5_llS5_PT6_ll16rocsparse_order_21rocsparse_index_base_b: ; @_ZN9rocsparseL31bsrmm_large_blockdim_kernel_extILj4ELj16ELj2EiiaaffEEvb20rocsparse_direction_T3_S2_llNS_24const_host_device_scalarIT7_EEPKT2_PKS2_PKT4_S2_PKT5_llS5_PT6_ll16rocsparse_order_21rocsparse_index_base_b
; %bb.0:
	s_clause 0x2
	s_load_b96 s[20:22], s[0:1], 0x80
	s_load_b64 s[6:7], s[0:1], 0x20
	s_load_b64 s[24:25], s[0:1], 0x60
	s_wait_kmcnt 0x0
	s_bitcmp1_b32 s22, 0
	s_cselect_b32 s2, -1, 0
	s_delay_alu instid0(SALU_CYCLE_1)
	s_and_b32 vcc_lo, exec_lo, s2
	s_xor_b32 s2, s2, -1
	s_cbranch_vccnz .LBB73_2
; %bb.1:
	s_load_b32 s6, s[6:7], 0x0
.LBB73_2:
	s_and_not1_b32 vcc_lo, exec_lo, s2
	s_cbranch_vccnz .LBB73_4
; %bb.3:
	s_load_b32 s24, s[24:25], 0x0
.LBB73_4:
	s_wait_kmcnt 0x0
	s_cmp_eq_f32 s6, 0
	s_mov_b32 s26, 0
	s_cselect_b32 s2, -1, 0
	s_cmp_eq_f32 s24, 1.0
	s_cselect_b32 s3, -1, 0
	s_delay_alu instid0(SALU_CYCLE_1) | instskip(NEXT) | instid1(SALU_CYCLE_1)
	s_and_b32 s2, s2, s3
	s_and_b32 vcc_lo, exec_lo, s2
	s_cbranch_vccnz .LBB73_48
; %bb.5:
	s_clause 0x1
	s_load_b128 s[8:11], s[0:1], 0x0
	s_load_b64 s[2:3], s[0:1], 0x28
	s_bfe_u32 s4, ttmp6, 0x4000c
	s_and_b32 s5, ttmp6, 15
	s_add_co_i32 s4, s4, 1
	s_delay_alu instid0(SALU_CYCLE_1)
	s_mul_i32 s7, ttmp9, s4
	s_getreg_b32 s4, hwreg(HW_REG_IB_STS2, 6, 4)
	s_add_co_i32 s5, s5, s7
	s_cmp_eq_u32 s4, 0
	s_cselect_b32 s22, ttmp9, s5
	s_wait_kmcnt 0x0
	s_cmp_lt_i32 s22, s10
	s_cselect_b32 s7, -1, 0
	s_cmp_ge_i32 s22, s10
	s_cbranch_scc1 .LBB73_7
; %bb.6:
	s_ashr_i32 s23, s22, 31
	s_delay_alu instid0(SALU_CYCLE_1) | instskip(NEXT) | instid1(SALU_CYCLE_1)
	s_lshl_b64 s[12:13], s[22:23], 2
	s_add_nc_u64 s[12:13], s[2:3], s[12:13]
	s_load_b32 s5, s[12:13], 0x0
	s_wait_kmcnt 0x0
	s_sub_co_i32 s26, s5, s21
.LBB73_7:
	s_and_not1_b32 vcc_lo, exec_lo, s7
	s_mov_b32 s23, 0
	s_cbranch_vccnz .LBB73_9
; %bb.8:
	s_ashr_i32 s23, s22, 31
	s_delay_alu instid0(SALU_CYCLE_1) | instskip(NEXT) | instid1(SALU_CYCLE_1)
	s_lshl_b64 s[12:13], s[22:23], 2
	s_add_nc_u64 s[2:3], s[2:3], s[12:13]
	s_load_b32 s2, s[2:3], 0x4
	s_wait_kmcnt 0x0
	s_sub_co_i32 s23, s2, s21
.LBB73_9:
	s_bfe_u32 s2, ttmp6, 0x40010
	s_bfe_u32 s3, ttmp6, 0x40004
	s_add_co_i32 s2, s2, 1
	s_load_b32 s10, s[0:1], 0x40
	s_mul_i32 s2, ttmp7, s2
	v_bfe_u32 v2, v0, 10, 10
	s_add_co_i32 s3, s3, s2
	s_cmp_eq_u32 s4, 0
	v_and_b32_e32 v14, 0x3ff, v0
	s_cselect_b32 s2, ttmp7, s3
	s_cmp_ge_i32 s26, s23
	v_lshl_add_u32 v4, s2, 5, v2
	s_delay_alu instid0(VALU_DEP_1) | instskip(SKIP_1) | instid1(VALU_DEP_2)
	v_add_nc_u32_e32 v0, 16, v4
	v_cmp_gt_i32_e64 s2, s11, v4
	v_cmp_gt_i32_e64 s3, s11, v0
	s_wait_kmcnt 0x0
	v_cmp_gt_i32_e32 vcc_lo, s10, v14
	s_cbranch_scc1 .LBB73_27
; %bb.10:
	s_clause 0x1
	s_load_b128 s[12:15], s[0:1], 0x48
	s_load_b128 s[16:19], s[0:1], 0x30
	v_dual_ashrrev_i32 v5, 31, v4 :: v_dual_lshlrev_b32 v15, 4, v2
	v_dual_ashrrev_i32 v1, 31, v0 :: v_dual_lshlrev_b32 v12, 4, v14
	v_cmp_gt_i32_e64 s4, s10, v2
	v_mad_u32 v3, s10, v2, v14
	v_mad_u32 v10, s10, v14, v2
	v_lshl_add_u32 v11, v2, 2, 0x200
	v_lshlrev_b32_e32 v13, 2, v14
	s_and_b32 s25, vcc_lo, s4
	s_bitcmp1_b32 s8, 0
	v_add_nc_u32_e32 v17, 0x200, v12
	s_cselect_b32 s4, -1, 0
	s_cmp_eq_u32 s9, 0
	v_add_nc_u32_e32 v20, v11, v12
	s_cselect_b32 s5, -1, 0
	v_add_nc_u32_e32 v18, 0x100, v15
	v_dual_cndmask_b32 v16, v3, v10, s5 :: v_dual_add_nc_u32 v19, v13, v15
	s_wait_kmcnt 0x0
	v_mul_u64_e32 v[6:7], s[14:15], v[4:5]
	v_mul_u64_e32 v[8:9], s[14:15], v[0:1]
	v_mov_b64_e32 v[2:3], 0
	s_mul_i32 s5, s10, s10
	s_branch .LBB73_13
.LBB73_11:                              ;   in Loop: Header=BB73_13 Depth=1
	s_or_b32 exec_lo, exec_lo, s9
.LBB73_12:                              ;   in Loop: Header=BB73_13 Depth=1
	s_delay_alu instid0(SALU_CYCLE_1) | instskip(SKIP_1) | instid1(SALU_CYCLE_1)
	s_or_b32 exec_lo, exec_lo, s8
	s_add_co_i32 s26, s26, 1
	s_cmp_ge_i32 s26, s23
	s_barrier_signal -1
	s_barrier_wait -1
	s_cbranch_scc1 .LBB73_28
.LBB73_13:                              ; =>This Loop Header: Depth=1
                                        ;     Child Loop BB73_23 Depth 2
                                        ;     Child Loop BB73_26 Depth 2
	s_and_saveexec_b32 s8, vcc_lo
	s_cbranch_execz .LBB73_18
; %bb.14:                               ;   in Loop: Header=BB73_13 Depth=1
	s_ashr_i32 s27, s26, 31
	s_delay_alu instid0(SALU_CYCLE_1) | instskip(NEXT) | instid1(SALU_CYCLE_1)
	s_lshl_b64 s[28:29], s[26:27], 2
	s_add_nc_u64 s[28:29], s[16:17], s[28:29]
	s_load_b32 s9, s[28:29], 0x0
	s_wait_kmcnt 0x0
	s_sub_co_i32 s9, s9, s21
	s_delay_alu instid0(SALU_CYCLE_1) | instskip(NEXT) | instid1(VALU_DEP_1)
	v_mad_u32 v12, s9, s10, v14
	v_mad_nc_u64_u32 v[10:11], s14, v12, s[12:13]
	v_ashrrev_i32_e32 v13, 31, v12
	s_delay_alu instid0(VALU_DEP_2) | instskip(NEXT) | instid1(VALU_DEP_1)
	v_mad_u32 v11, s15, v12, v11
	v_mad_u32 v11, s14, v13, v11
	v_add_nc_u64_e32 v[12:13], s[12:13], v[12:13]
	s_and_saveexec_b32 s9, s2
	s_cbranch_execz .LBB73_16
; %bb.15:                               ;   in Loop: Header=BB73_13 Depth=1
	s_delay_alu instid0(VALU_DEP_2) | instskip(NEXT) | instid1(VALU_DEP_2)
	v_add_nc_u64_e32 v[22:23], v[10:11], v[4:5]
	v_add_nc_u64_e32 v[24:25], v[12:13], v[6:7]
	s_delay_alu instid0(VALU_DEP_1)
	v_dual_cndmask_b32 v23, v23, v25, s4 :: v_dual_cndmask_b32 v22, v22, v24, s4
	global_load_i8 v21, v[22:23], off
	s_wait_loadcnt 0x0
	v_cvt_f32_i32_e32 v21, v21
	ds_store_b32 v19, v21
.LBB73_16:                              ;   in Loop: Header=BB73_13 Depth=1
	s_or_b32 exec_lo, exec_lo, s9
	s_delay_alu instid0(SALU_CYCLE_1)
	s_and_b32 exec_lo, exec_lo, s3
	s_cbranch_execz .LBB73_18
; %bb.17:                               ;   in Loop: Header=BB73_13 Depth=1
	s_delay_alu instid0(VALU_DEP_1) | instskip(NEXT) | instid1(VALU_DEP_3)
	v_add_nc_u64_e32 v[12:13], v[12:13], v[8:9]
	v_add_nc_u64_e32 v[10:11], v[10:11], v[0:1]
	s_delay_alu instid0(VALU_DEP_1)
	v_dual_cndmask_b32 v11, v11, v13, s4 :: v_dual_cndmask_b32 v10, v10, v12, s4
	global_load_i8 v10, v[10:11], off
	s_wait_loadcnt 0x0
	v_cvt_f32_i32_e32 v10, v10
	ds_store_b32 v19, v10 offset:256
.LBB73_18:                              ;   in Loop: Header=BB73_13 Depth=1
	s_or_b32 exec_lo, exec_lo, s8
	s_and_saveexec_b32 s8, s25
	s_cbranch_execz .LBB73_20
; %bb.19:                               ;   in Loop: Header=BB73_13 Depth=1
	v_mad_u32 v10, s5, s26, v16
	global_load_i8 v10, v10, s[18:19]
	s_wait_loadcnt 0x0
	v_cvt_f32_i32_e32 v10, v10
	ds_store_b32 v20, v10
.LBB73_20:                              ;   in Loop: Header=BB73_13 Depth=1
	s_or_b32 exec_lo, exec_lo, s8
	s_wait_dscnt 0x0
	s_barrier_signal -1
	s_barrier_wait -1
	s_and_saveexec_b32 s8, vcc_lo
	s_cbranch_execz .LBB73_12
; %bb.21:                               ;   in Loop: Header=BB73_13 Depth=1
	s_and_saveexec_b32 s9, s2
	s_cbranch_execz .LBB73_24
; %bb.22:                               ;   in Loop: Header=BB73_13 Depth=1
	v_dual_mov_b32 v10, v17 :: v_dual_mov_b32 v11, v15
	s_mov_b32 s27, s10
.LBB73_23:                              ;   Parent Loop BB73_13 Depth=1
                                        ; =>  This Inner Loop Header: Depth=2
	ds_load_b32 v12, v10
	ds_load_b32 v13, v11
	v_dual_add_nc_u32 v11, 4, v11 :: v_dual_add_nc_u32 v10, 4, v10
	s_add_co_i32 s27, s27, -1
	s_delay_alu instid0(SALU_CYCLE_1)
	s_cmp_lg_u32 s27, 0
	s_wait_dscnt 0x0
	v_fma_f32 v2, v12, v13, v2
	s_cbranch_scc1 .LBB73_23
.LBB73_24:                              ;   in Loop: Header=BB73_13 Depth=1
	s_or_b32 exec_lo, exec_lo, s9
	s_and_saveexec_b32 s9, s3
	s_cbranch_execz .LBB73_11
; %bb.25:                               ;   in Loop: Header=BB73_13 Depth=1
	v_dual_mov_b32 v10, v17 :: v_dual_mov_b32 v11, v18
	s_mov_b32 s27, s10
.LBB73_26:                              ;   Parent Loop BB73_13 Depth=1
                                        ; =>  This Inner Loop Header: Depth=2
	ds_load_b32 v12, v10
	ds_load_b32 v13, v11
	v_dual_add_nc_u32 v11, 4, v11 :: v_dual_add_nc_u32 v10, 4, v10
	s_add_co_i32 s27, s27, -1
	s_delay_alu instid0(SALU_CYCLE_1)
	s_cmp_lg_u32 s27, 0
	s_wait_dscnt 0x0
	v_fma_f32 v3, v12, v13, v3
	s_cbranch_scc1 .LBB73_26
	s_branch .LBB73_11
.LBB73_27:
	v_mov_b64_e32 v[2:3], 0
.LBB73_28:
	s_load_b64 s[4:5], s[0:1], 0x68
	s_and_b32 s2, s7, vcc_lo
	s_delay_alu instid0(SALU_CYCLE_1)
	s_and_saveexec_b32 s3, s2
	s_cbranch_execz .LBB73_48
; %bb.29:
	s_load_b64 s[2:3], s[0:1], 0x70
	v_mad_u32 v6, s10, s22, v14
	s_cmp_neq_f32 s24, 0
	s_wait_xcnt 0x0
	s_mov_b32 s0, exec_lo
	s_cselect_b32 s7, -1, 0
	s_cmp_lg_u32 s20, 1
	s_cselect_b32 s1, -1, 0
	s_delay_alu instid0(VALU_DEP_1) | instskip(SKIP_1) | instid1(VALU_DEP_1)
	v_ashrrev_i32_e32 v7, 31, v6
	s_wait_kmcnt 0x0
	v_mul_u64_e32 v[8:9], s[2:3], v[6:7]
	v_lshl_add_u64 v[6:7], v[6:7], 2, s[4:5]
	s_delay_alu instid0(VALU_DEP_2)
	v_lshl_add_u64 v[8:9], v[8:9], 2, s[4:5]
	v_cmpx_gt_i32_e64 s11, v4
	s_cbranch_execz .LBB73_41
; %bb.30:
	v_ashrrev_i32_e32 v5, 31, v4
	s_and_b32 vcc_lo, exec_lo, s7
	s_cbranch_vccz .LBB73_36
; %bb.31:
	s_and_b32 vcc_lo, exec_lo, s1
	s_mov_b32 s4, -1
	s_cbranch_vccz .LBB73_33
; %bb.32:
	v_lshl_add_u64 v[10:11], v[4:5], 2, v[8:9]
	v_mul_f32_e32 v12, s6, v2
	s_mov_b32 s4, 0
	global_load_b32 v1, v[10:11], off
	s_wait_loadcnt 0x0
	v_fmac_f32_e32 v12, s24, v1
	global_store_b32 v[10:11], v12, off
.LBB73_33:
	s_and_not1_b32 vcc_lo, exec_lo, s4
	s_cbranch_vccnz .LBB73_35
; %bb.34:
	s_wait_xcnt 0x0
	v_mul_u64_e32 v[10:11], s[2:3], v[4:5]
	v_mul_f32_e32 v12, s6, v2
	s_delay_alu instid0(VALU_DEP_2)
	v_lshl_add_u64 v[10:11], v[10:11], 2, v[6:7]
	global_load_b32 v1, v[10:11], off
	s_wait_loadcnt 0x0
	v_fmac_f32_e32 v12, s24, v1
	global_store_b32 v[10:11], v12, off
.LBB73_35:
	s_cbranch_execz .LBB73_37
	s_branch .LBB73_41
.LBB73_36:
.LBB73_37:
	v_mul_f32_e32 v1, s6, v2
	s_and_b32 vcc_lo, exec_lo, s1
	s_mov_b32 s4, -1
	s_cbranch_vccz .LBB73_39
; %bb.38:
	s_wait_xcnt 0x0
	v_lshl_add_u64 v[10:11], v[4:5], 2, v[8:9]
	s_mov_b32 s4, 0
	global_store_b32 v[10:11], v1, off
.LBB73_39:
	s_and_not1_b32 vcc_lo, exec_lo, s4
	s_cbranch_vccnz .LBB73_41
; %bb.40:
	v_mul_u64_e32 v[4:5], s[2:3], v[4:5]
	s_delay_alu instid0(VALU_DEP_1)
	v_lshl_add_u64 v[4:5], v[4:5], 2, v[6:7]
	global_store_b32 v[4:5], v1, off
.LBB73_41:
	s_wait_xcnt 0x0
	s_or_b32 exec_lo, exec_lo, s0
	v_cmp_gt_i32_e32 vcc_lo, s11, v0
	s_and_b32 exec_lo, exec_lo, vcc_lo
	s_cbranch_execz .LBB73_48
; %bb.42:
	v_cndmask_b32_e64 v2, 0, 1, s1
	v_ashrrev_i32_e32 v1, 31, v0
	s_and_not1_b32 vcc_lo, exec_lo, s7
	s_delay_alu instid0(VALU_DEP_2)
	v_cmp_ne_u32_e64 s0, 1, v2
	s_cbranch_vccnz .LBB73_49
; %bb.43:
	s_and_b32 vcc_lo, exec_lo, s0
	s_mov_b32 s0, -1
	s_cbranch_vccnz .LBB73_45
; %bb.44:
	v_lshl_add_u64 v[4:5], v[0:1], 2, v[8:9]
	v_mul_f32_e32 v10, s6, v3
	s_mov_b32 s0, 0
	global_load_b32 v2, v[4:5], off
	s_wait_loadcnt 0x0
	v_fmac_f32_e32 v10, s24, v2
	global_store_b32 v[4:5], v10, off
.LBB73_45:
	s_and_not1_b32 vcc_lo, exec_lo, s0
	s_cbranch_vccnz .LBB73_47
; %bb.46:
	s_wait_xcnt 0x0
	v_mul_u64_e32 v[4:5], s[2:3], v[0:1]
	v_mul_f32_e32 v10, s6, v3
	s_delay_alu instid0(VALU_DEP_2)
	v_lshl_add_u64 v[4:5], v[4:5], 2, v[6:7]
	global_load_b32 v2, v[4:5], off
	s_wait_loadcnt 0x0
	v_fmac_f32_e32 v10, s24, v2
	global_store_b32 v[4:5], v10, off
.LBB73_47:
	s_cbranch_execz .LBB73_50
.LBB73_48:
	s_endpgm
.LBB73_49:
.LBB73_50:
	v_mul_f32_e32 v2, s6, v3
	s_and_not1_b32 vcc_lo, exec_lo, s1
	s_mov_b32 s0, -1
	s_cbranch_vccnz .LBB73_52
; %bb.51:
	s_wait_xcnt 0x0
	v_lshl_add_u64 v[4:5], v[0:1], 2, v[8:9]
	s_mov_b32 s0, 0
	global_store_b32 v[4:5], v2, off
.LBB73_52:
	s_and_not1_b32 vcc_lo, exec_lo, s0
	s_cbranch_vccnz .LBB73_48
; %bb.53:
	v_mul_u64_e32 v[0:1], s[2:3], v[0:1]
	s_delay_alu instid0(VALU_DEP_1)
	v_lshl_add_u64 v[0:1], v[0:1], 2, v[6:7]
	global_store_b32 v[0:1], v2, off
	s_endpgm
	.section	.rodata,"a",@progbits
	.p2align	6, 0x0
	.amdhsa_kernel _ZN9rocsparseL31bsrmm_large_blockdim_kernel_extILj4ELj16ELj2EiiaaffEEvb20rocsparse_direction_T3_S2_llNS_24const_host_device_scalarIT7_EEPKT2_PKS2_PKT4_S2_PKT5_llS5_PT6_ll16rocsparse_order_21rocsparse_index_base_b
		.amdhsa_group_segment_fixed_size 576
		.amdhsa_private_segment_fixed_size 0
		.amdhsa_kernarg_size 140
		.amdhsa_user_sgpr_count 2
		.amdhsa_user_sgpr_dispatch_ptr 0
		.amdhsa_user_sgpr_queue_ptr 0
		.amdhsa_user_sgpr_kernarg_segment_ptr 1
		.amdhsa_user_sgpr_dispatch_id 0
		.amdhsa_user_sgpr_kernarg_preload_length 0
		.amdhsa_user_sgpr_kernarg_preload_offset 0
		.amdhsa_user_sgpr_private_segment_size 0
		.amdhsa_wavefront_size32 1
		.amdhsa_uses_dynamic_stack 0
		.amdhsa_enable_private_segment 0
		.amdhsa_system_sgpr_workgroup_id_x 1
		.amdhsa_system_sgpr_workgroup_id_y 1
		.amdhsa_system_sgpr_workgroup_id_z 0
		.amdhsa_system_sgpr_workgroup_info 0
		.amdhsa_system_vgpr_workitem_id 1
		.amdhsa_next_free_vgpr 26
		.amdhsa_next_free_sgpr 30
		.amdhsa_named_barrier_count 0
		.amdhsa_reserve_vcc 1
		.amdhsa_float_round_mode_32 0
		.amdhsa_float_round_mode_16_64 0
		.amdhsa_float_denorm_mode_32 3
		.amdhsa_float_denorm_mode_16_64 3
		.amdhsa_fp16_overflow 0
		.amdhsa_memory_ordered 1
		.amdhsa_forward_progress 1
		.amdhsa_inst_pref_size 13
		.amdhsa_round_robin_scheduling 0
		.amdhsa_exception_fp_ieee_invalid_op 0
		.amdhsa_exception_fp_denorm_src 0
		.amdhsa_exception_fp_ieee_div_zero 0
		.amdhsa_exception_fp_ieee_overflow 0
		.amdhsa_exception_fp_ieee_underflow 0
		.amdhsa_exception_fp_ieee_inexact 0
		.amdhsa_exception_int_div_zero 0
	.end_amdhsa_kernel
	.section	.text._ZN9rocsparseL31bsrmm_large_blockdim_kernel_extILj4ELj16ELj2EiiaaffEEvb20rocsparse_direction_T3_S2_llNS_24const_host_device_scalarIT7_EEPKT2_PKS2_PKT4_S2_PKT5_llS5_PT6_ll16rocsparse_order_21rocsparse_index_base_b,"axG",@progbits,_ZN9rocsparseL31bsrmm_large_blockdim_kernel_extILj4ELj16ELj2EiiaaffEEvb20rocsparse_direction_T3_S2_llNS_24const_host_device_scalarIT7_EEPKT2_PKS2_PKT4_S2_PKT5_llS5_PT6_ll16rocsparse_order_21rocsparse_index_base_b,comdat
.Lfunc_end73:
	.size	_ZN9rocsparseL31bsrmm_large_blockdim_kernel_extILj4ELj16ELj2EiiaaffEEvb20rocsparse_direction_T3_S2_llNS_24const_host_device_scalarIT7_EEPKT2_PKS2_PKT4_S2_PKT5_llS5_PT6_ll16rocsparse_order_21rocsparse_index_base_b, .Lfunc_end73-_ZN9rocsparseL31bsrmm_large_blockdim_kernel_extILj4ELj16ELj2EiiaaffEEvb20rocsparse_direction_T3_S2_llNS_24const_host_device_scalarIT7_EEPKT2_PKS2_PKT4_S2_PKT5_llS5_PT6_ll16rocsparse_order_21rocsparse_index_base_b
                                        ; -- End function
	.set _ZN9rocsparseL31bsrmm_large_blockdim_kernel_extILj4ELj16ELj2EiiaaffEEvb20rocsparse_direction_T3_S2_llNS_24const_host_device_scalarIT7_EEPKT2_PKS2_PKT4_S2_PKT5_llS5_PT6_ll16rocsparse_order_21rocsparse_index_base_b.num_vgpr, 26
	.set _ZN9rocsparseL31bsrmm_large_blockdim_kernel_extILj4ELj16ELj2EiiaaffEEvb20rocsparse_direction_T3_S2_llNS_24const_host_device_scalarIT7_EEPKT2_PKS2_PKT4_S2_PKT5_llS5_PT6_ll16rocsparse_order_21rocsparse_index_base_b.num_agpr, 0
	.set _ZN9rocsparseL31bsrmm_large_blockdim_kernel_extILj4ELj16ELj2EiiaaffEEvb20rocsparse_direction_T3_S2_llNS_24const_host_device_scalarIT7_EEPKT2_PKS2_PKT4_S2_PKT5_llS5_PT6_ll16rocsparse_order_21rocsparse_index_base_b.numbered_sgpr, 30
	.set _ZN9rocsparseL31bsrmm_large_blockdim_kernel_extILj4ELj16ELj2EiiaaffEEvb20rocsparse_direction_T3_S2_llNS_24const_host_device_scalarIT7_EEPKT2_PKS2_PKT4_S2_PKT5_llS5_PT6_ll16rocsparse_order_21rocsparse_index_base_b.num_named_barrier, 0
	.set _ZN9rocsparseL31bsrmm_large_blockdim_kernel_extILj4ELj16ELj2EiiaaffEEvb20rocsparse_direction_T3_S2_llNS_24const_host_device_scalarIT7_EEPKT2_PKS2_PKT4_S2_PKT5_llS5_PT6_ll16rocsparse_order_21rocsparse_index_base_b.private_seg_size, 0
	.set _ZN9rocsparseL31bsrmm_large_blockdim_kernel_extILj4ELj16ELj2EiiaaffEEvb20rocsparse_direction_T3_S2_llNS_24const_host_device_scalarIT7_EEPKT2_PKS2_PKT4_S2_PKT5_llS5_PT6_ll16rocsparse_order_21rocsparse_index_base_b.uses_vcc, 1
	.set _ZN9rocsparseL31bsrmm_large_blockdim_kernel_extILj4ELj16ELj2EiiaaffEEvb20rocsparse_direction_T3_S2_llNS_24const_host_device_scalarIT7_EEPKT2_PKS2_PKT4_S2_PKT5_llS5_PT6_ll16rocsparse_order_21rocsparse_index_base_b.uses_flat_scratch, 0
	.set _ZN9rocsparseL31bsrmm_large_blockdim_kernel_extILj4ELj16ELj2EiiaaffEEvb20rocsparse_direction_T3_S2_llNS_24const_host_device_scalarIT7_EEPKT2_PKS2_PKT4_S2_PKT5_llS5_PT6_ll16rocsparse_order_21rocsparse_index_base_b.has_dyn_sized_stack, 0
	.set _ZN9rocsparseL31bsrmm_large_blockdim_kernel_extILj4ELj16ELj2EiiaaffEEvb20rocsparse_direction_T3_S2_llNS_24const_host_device_scalarIT7_EEPKT2_PKS2_PKT4_S2_PKT5_llS5_PT6_ll16rocsparse_order_21rocsparse_index_base_b.has_recursion, 0
	.set _ZN9rocsparseL31bsrmm_large_blockdim_kernel_extILj4ELj16ELj2EiiaaffEEvb20rocsparse_direction_T3_S2_llNS_24const_host_device_scalarIT7_EEPKT2_PKS2_PKT4_S2_PKT5_llS5_PT6_ll16rocsparse_order_21rocsparse_index_base_b.has_indirect_call, 0
	.section	.AMDGPU.csdata,"",@progbits
; Kernel info:
; codeLenInByte = 1640
; TotalNumSgprs: 32
; NumVgprs: 26
; ScratchSize: 0
; MemoryBound: 0
; FloatMode: 240
; IeeeMode: 1
; LDSByteSize: 576 bytes/workgroup (compile time only)
; SGPRBlocks: 0
; VGPRBlocks: 1
; NumSGPRsForWavesPerEU: 32
; NumVGPRsForWavesPerEU: 26
; NamedBarCnt: 0
; Occupancy: 16
; WaveLimiterHint : 1
; COMPUTE_PGM_RSRC2:SCRATCH_EN: 0
; COMPUTE_PGM_RSRC2:USER_SGPR: 2
; COMPUTE_PGM_RSRC2:TRAP_HANDLER: 0
; COMPUTE_PGM_RSRC2:TGID_X_EN: 1
; COMPUTE_PGM_RSRC2:TGID_Y_EN: 1
; COMPUTE_PGM_RSRC2:TGID_Z_EN: 0
; COMPUTE_PGM_RSRC2:TIDIG_COMP_CNT: 1
	.section	.text._ZN9rocsparseL31bsrmm_large_blockdim_kernel_extILj16ELj16ELj2EiiaaffEEvb20rocsparse_direction_T3_S2_llNS_24const_host_device_scalarIT7_EEPKT2_PKS2_PKT4_S2_PKT5_llS5_PT6_ll16rocsparse_order_21rocsparse_index_base_b,"axG",@progbits,_ZN9rocsparseL31bsrmm_large_blockdim_kernel_extILj16ELj16ELj2EiiaaffEEvb20rocsparse_direction_T3_S2_llNS_24const_host_device_scalarIT7_EEPKT2_PKS2_PKT4_S2_PKT5_llS5_PT6_ll16rocsparse_order_21rocsparse_index_base_b,comdat
	.globl	_ZN9rocsparseL31bsrmm_large_blockdim_kernel_extILj16ELj16ELj2EiiaaffEEvb20rocsparse_direction_T3_S2_llNS_24const_host_device_scalarIT7_EEPKT2_PKS2_PKT4_S2_PKT5_llS5_PT6_ll16rocsparse_order_21rocsparse_index_base_b ; -- Begin function _ZN9rocsparseL31bsrmm_large_blockdim_kernel_extILj16ELj16ELj2EiiaaffEEvb20rocsparse_direction_T3_S2_llNS_24const_host_device_scalarIT7_EEPKT2_PKS2_PKT4_S2_PKT5_llS5_PT6_ll16rocsparse_order_21rocsparse_index_base_b
	.p2align	8
	.type	_ZN9rocsparseL31bsrmm_large_blockdim_kernel_extILj16ELj16ELj2EiiaaffEEvb20rocsparse_direction_T3_S2_llNS_24const_host_device_scalarIT7_EEPKT2_PKS2_PKT4_S2_PKT5_llS5_PT6_ll16rocsparse_order_21rocsparse_index_base_b,@function
_ZN9rocsparseL31bsrmm_large_blockdim_kernel_extILj16ELj16ELj2EiiaaffEEvb20rocsparse_direction_T3_S2_llNS_24const_host_device_scalarIT7_EEPKT2_PKS2_PKT4_S2_PKT5_llS5_PT6_ll16rocsparse_order_21rocsparse_index_base_b: ; @_ZN9rocsparseL31bsrmm_large_blockdim_kernel_extILj16ELj16ELj2EiiaaffEEvb20rocsparse_direction_T3_S2_llNS_24const_host_device_scalarIT7_EEPKT2_PKS2_PKT4_S2_PKT5_llS5_PT6_ll16rocsparse_order_21rocsparse_index_base_b
; %bb.0:
	s_clause 0x2
	s_load_b96 s[20:22], s[0:1], 0x80
	s_load_b64 s[6:7], s[0:1], 0x20
	s_load_b64 s[24:25], s[0:1], 0x60
	s_wait_kmcnt 0x0
	s_bitcmp1_b32 s22, 0
	s_cselect_b32 s2, -1, 0
	s_delay_alu instid0(SALU_CYCLE_1)
	s_and_b32 vcc_lo, exec_lo, s2
	s_xor_b32 s2, s2, -1
	s_cbranch_vccnz .LBB74_2
; %bb.1:
	s_load_b32 s6, s[6:7], 0x0
.LBB74_2:
	s_and_not1_b32 vcc_lo, exec_lo, s2
	s_cbranch_vccnz .LBB74_4
; %bb.3:
	s_load_b32 s24, s[24:25], 0x0
.LBB74_4:
	s_wait_kmcnt 0x0
	s_cmp_eq_f32 s6, 0
	s_mov_b32 s26, 0
	s_cselect_b32 s2, -1, 0
	s_cmp_eq_f32 s24, 1.0
	s_cselect_b32 s3, -1, 0
	s_delay_alu instid0(SALU_CYCLE_1) | instskip(NEXT) | instid1(SALU_CYCLE_1)
	s_and_b32 s2, s2, s3
	s_and_b32 vcc_lo, exec_lo, s2
	s_cbranch_vccnz .LBB74_48
; %bb.5:
	s_clause 0x1
	s_load_b128 s[8:11], s[0:1], 0x0
	s_load_b64 s[2:3], s[0:1], 0x28
	s_bfe_u32 s4, ttmp6, 0x4000c
	s_and_b32 s5, ttmp6, 15
	s_add_co_i32 s4, s4, 1
	s_delay_alu instid0(SALU_CYCLE_1)
	s_mul_i32 s7, ttmp9, s4
	s_getreg_b32 s4, hwreg(HW_REG_IB_STS2, 6, 4)
	s_add_co_i32 s5, s5, s7
	s_cmp_eq_u32 s4, 0
	s_cselect_b32 s22, ttmp9, s5
	s_wait_kmcnt 0x0
	s_cmp_lt_i32 s22, s10
	s_cselect_b32 s7, -1, 0
	s_cmp_ge_i32 s22, s10
	s_cbranch_scc1 .LBB74_7
; %bb.6:
	s_ashr_i32 s23, s22, 31
	s_delay_alu instid0(SALU_CYCLE_1) | instskip(NEXT) | instid1(SALU_CYCLE_1)
	s_lshl_b64 s[12:13], s[22:23], 2
	s_add_nc_u64 s[12:13], s[2:3], s[12:13]
	s_load_b32 s5, s[12:13], 0x0
	s_wait_kmcnt 0x0
	s_sub_co_i32 s26, s5, s21
.LBB74_7:
	s_and_not1_b32 vcc_lo, exec_lo, s7
	s_mov_b32 s23, 0
	s_cbranch_vccnz .LBB74_9
; %bb.8:
	s_ashr_i32 s23, s22, 31
	s_delay_alu instid0(SALU_CYCLE_1) | instskip(NEXT) | instid1(SALU_CYCLE_1)
	s_lshl_b64 s[12:13], s[22:23], 2
	s_add_nc_u64 s[2:3], s[2:3], s[12:13]
	s_load_b32 s2, s[2:3], 0x4
	s_wait_kmcnt 0x0
	s_sub_co_i32 s23, s2, s21
.LBB74_9:
	s_bfe_u32 s2, ttmp6, 0x40010
	s_bfe_u32 s3, ttmp6, 0x40004
	s_add_co_i32 s2, s2, 1
	s_load_b32 s10, s[0:1], 0x40
	s_mul_i32 s2, ttmp7, s2
	v_bfe_u32 v2, v0, 10, 10
	s_add_co_i32 s3, s3, s2
	s_cmp_eq_u32 s4, 0
	v_and_b32_e32 v14, 0x3ff, v0
	s_cselect_b32 s2, ttmp7, s3
	s_cmp_ge_i32 s26, s23
	v_lshl_add_u32 v4, s2, 5, v2
	s_delay_alu instid0(VALU_DEP_1) | instskip(SKIP_1) | instid1(VALU_DEP_2)
	v_add_nc_u32_e32 v0, 16, v4
	v_cmp_gt_i32_e64 s2, s11, v4
	v_cmp_gt_i32_e64 s3, s11, v0
	s_wait_kmcnt 0x0
	v_cmp_gt_i32_e32 vcc_lo, s10, v14
	s_cbranch_scc1 .LBB74_27
; %bb.10:
	s_clause 0x1
	s_load_b128 s[12:15], s[0:1], 0x48
	s_load_b128 s[16:19], s[0:1], 0x30
	v_dual_ashrrev_i32 v5, 31, v4 :: v_dual_lshlrev_b32 v15, 6, v2
	v_dual_ashrrev_i32 v1, 31, v0 :: v_dual_lshlrev_b32 v12, 6, v14
	v_cmp_gt_i32_e64 s4, s10, v2
	v_mad_u32 v3, s10, v2, v14
	v_mad_u32 v10, s10, v14, v2
	v_lshl_add_u32 v11, v2, 2, 0x800
	v_lshlrev_b32_e32 v13, 2, v14
	s_and_b32 s25, vcc_lo, s4
	s_bitcmp1_b32 s8, 0
	v_add_nc_u32_e32 v17, 0x800, v12
	s_cselect_b32 s4, -1, 0
	s_cmp_eq_u32 s9, 0
	v_add_nc_u32_e32 v20, v11, v12
	s_cselect_b32 s5, -1, 0
	v_add_nc_u32_e32 v18, 0x400, v15
	v_dual_cndmask_b32 v16, v3, v10, s5 :: v_dual_add_nc_u32 v19, v13, v15
	s_wait_kmcnt 0x0
	v_mul_u64_e32 v[6:7], s[14:15], v[4:5]
	v_mul_u64_e32 v[8:9], s[14:15], v[0:1]
	v_mov_b64_e32 v[2:3], 0
	s_mul_i32 s5, s10, s10
	s_branch .LBB74_13
.LBB74_11:                              ;   in Loop: Header=BB74_13 Depth=1
	s_or_b32 exec_lo, exec_lo, s9
.LBB74_12:                              ;   in Loop: Header=BB74_13 Depth=1
	s_delay_alu instid0(SALU_CYCLE_1) | instskip(SKIP_1) | instid1(SALU_CYCLE_1)
	s_or_b32 exec_lo, exec_lo, s8
	s_add_co_i32 s26, s26, 1
	s_cmp_ge_i32 s26, s23
	s_barrier_signal -1
	s_barrier_wait -1
	s_cbranch_scc1 .LBB74_28
.LBB74_13:                              ; =>This Loop Header: Depth=1
                                        ;     Child Loop BB74_23 Depth 2
                                        ;     Child Loop BB74_26 Depth 2
	s_and_saveexec_b32 s8, vcc_lo
	s_cbranch_execz .LBB74_18
; %bb.14:                               ;   in Loop: Header=BB74_13 Depth=1
	s_ashr_i32 s27, s26, 31
	s_delay_alu instid0(SALU_CYCLE_1) | instskip(NEXT) | instid1(SALU_CYCLE_1)
	s_lshl_b64 s[28:29], s[26:27], 2
	s_add_nc_u64 s[28:29], s[16:17], s[28:29]
	s_load_b32 s9, s[28:29], 0x0
	s_wait_kmcnt 0x0
	s_sub_co_i32 s9, s9, s21
	s_delay_alu instid0(SALU_CYCLE_1) | instskip(NEXT) | instid1(VALU_DEP_1)
	v_mad_u32 v12, s9, s10, v14
	v_mad_nc_u64_u32 v[10:11], s14, v12, s[12:13]
	v_ashrrev_i32_e32 v13, 31, v12
	s_delay_alu instid0(VALU_DEP_2) | instskip(NEXT) | instid1(VALU_DEP_1)
	v_mad_u32 v11, s15, v12, v11
	v_mad_u32 v11, s14, v13, v11
	v_add_nc_u64_e32 v[12:13], s[12:13], v[12:13]
	s_and_saveexec_b32 s9, s2
	s_cbranch_execz .LBB74_16
; %bb.15:                               ;   in Loop: Header=BB74_13 Depth=1
	s_delay_alu instid0(VALU_DEP_2) | instskip(NEXT) | instid1(VALU_DEP_2)
	v_add_nc_u64_e32 v[22:23], v[10:11], v[4:5]
	v_add_nc_u64_e32 v[24:25], v[12:13], v[6:7]
	s_delay_alu instid0(VALU_DEP_1)
	v_dual_cndmask_b32 v23, v23, v25, s4 :: v_dual_cndmask_b32 v22, v22, v24, s4
	global_load_i8 v21, v[22:23], off
	s_wait_loadcnt 0x0
	v_cvt_f32_i32_e32 v21, v21
	ds_store_b32 v19, v21
.LBB74_16:                              ;   in Loop: Header=BB74_13 Depth=1
	s_or_b32 exec_lo, exec_lo, s9
	s_delay_alu instid0(SALU_CYCLE_1)
	s_and_b32 exec_lo, exec_lo, s3
	s_cbranch_execz .LBB74_18
; %bb.17:                               ;   in Loop: Header=BB74_13 Depth=1
	s_delay_alu instid0(VALU_DEP_1) | instskip(NEXT) | instid1(VALU_DEP_3)
	v_add_nc_u64_e32 v[12:13], v[12:13], v[8:9]
	v_add_nc_u64_e32 v[10:11], v[10:11], v[0:1]
	s_delay_alu instid0(VALU_DEP_1)
	v_dual_cndmask_b32 v11, v11, v13, s4 :: v_dual_cndmask_b32 v10, v10, v12, s4
	global_load_i8 v10, v[10:11], off
	s_wait_loadcnt 0x0
	v_cvt_f32_i32_e32 v10, v10
	ds_store_b32 v19, v10 offset:1024
.LBB74_18:                              ;   in Loop: Header=BB74_13 Depth=1
	s_or_b32 exec_lo, exec_lo, s8
	s_and_saveexec_b32 s8, s25
	s_cbranch_execz .LBB74_20
; %bb.19:                               ;   in Loop: Header=BB74_13 Depth=1
	v_mad_u32 v10, s5, s26, v16
	global_load_i8 v10, v10, s[18:19]
	s_wait_loadcnt 0x0
	v_cvt_f32_i32_e32 v10, v10
	ds_store_b32 v20, v10
.LBB74_20:                              ;   in Loop: Header=BB74_13 Depth=1
	s_or_b32 exec_lo, exec_lo, s8
	s_wait_dscnt 0x0
	s_barrier_signal -1
	s_barrier_wait -1
	s_and_saveexec_b32 s8, vcc_lo
	s_cbranch_execz .LBB74_12
; %bb.21:                               ;   in Loop: Header=BB74_13 Depth=1
	s_and_saveexec_b32 s9, s2
	s_cbranch_execz .LBB74_24
; %bb.22:                               ;   in Loop: Header=BB74_13 Depth=1
	v_dual_mov_b32 v10, v17 :: v_dual_mov_b32 v11, v15
	s_mov_b32 s27, s10
.LBB74_23:                              ;   Parent Loop BB74_13 Depth=1
                                        ; =>  This Inner Loop Header: Depth=2
	ds_load_b32 v12, v10
	ds_load_b32 v13, v11
	v_dual_add_nc_u32 v11, 4, v11 :: v_dual_add_nc_u32 v10, 4, v10
	s_add_co_i32 s27, s27, -1
	s_delay_alu instid0(SALU_CYCLE_1)
	s_cmp_lg_u32 s27, 0
	s_wait_dscnt 0x0
	v_fma_f32 v2, v12, v13, v2
	s_cbranch_scc1 .LBB74_23
.LBB74_24:                              ;   in Loop: Header=BB74_13 Depth=1
	s_or_b32 exec_lo, exec_lo, s9
	s_and_saveexec_b32 s9, s3
	s_cbranch_execz .LBB74_11
; %bb.25:                               ;   in Loop: Header=BB74_13 Depth=1
	v_dual_mov_b32 v10, v17 :: v_dual_mov_b32 v11, v18
	s_mov_b32 s27, s10
.LBB74_26:                              ;   Parent Loop BB74_13 Depth=1
                                        ; =>  This Inner Loop Header: Depth=2
	ds_load_b32 v12, v10
	ds_load_b32 v13, v11
	v_dual_add_nc_u32 v11, 4, v11 :: v_dual_add_nc_u32 v10, 4, v10
	s_add_co_i32 s27, s27, -1
	s_delay_alu instid0(SALU_CYCLE_1)
	s_cmp_lg_u32 s27, 0
	s_wait_dscnt 0x0
	v_fma_f32 v3, v12, v13, v3
	s_cbranch_scc1 .LBB74_26
	s_branch .LBB74_11
.LBB74_27:
	v_mov_b64_e32 v[2:3], 0
.LBB74_28:
	s_load_b64 s[4:5], s[0:1], 0x68
	s_and_b32 s2, s7, vcc_lo
	s_delay_alu instid0(SALU_CYCLE_1)
	s_and_saveexec_b32 s3, s2
	s_cbranch_execz .LBB74_48
; %bb.29:
	s_load_b64 s[2:3], s[0:1], 0x70
	v_mad_u32 v6, s10, s22, v14
	s_cmp_neq_f32 s24, 0
	s_wait_xcnt 0x0
	s_mov_b32 s0, exec_lo
	s_cselect_b32 s7, -1, 0
	s_cmp_lg_u32 s20, 1
	s_cselect_b32 s1, -1, 0
	s_delay_alu instid0(VALU_DEP_1) | instskip(SKIP_1) | instid1(VALU_DEP_1)
	v_ashrrev_i32_e32 v7, 31, v6
	s_wait_kmcnt 0x0
	v_mul_u64_e32 v[8:9], s[2:3], v[6:7]
	v_lshl_add_u64 v[6:7], v[6:7], 2, s[4:5]
	s_delay_alu instid0(VALU_DEP_2)
	v_lshl_add_u64 v[8:9], v[8:9], 2, s[4:5]
	v_cmpx_gt_i32_e64 s11, v4
	s_cbranch_execz .LBB74_41
; %bb.30:
	v_ashrrev_i32_e32 v5, 31, v4
	s_and_b32 vcc_lo, exec_lo, s7
	s_cbranch_vccz .LBB74_36
; %bb.31:
	s_and_b32 vcc_lo, exec_lo, s1
	s_mov_b32 s4, -1
	s_cbranch_vccz .LBB74_33
; %bb.32:
	v_lshl_add_u64 v[10:11], v[4:5], 2, v[8:9]
	v_mul_f32_e32 v12, s6, v2
	s_mov_b32 s4, 0
	global_load_b32 v1, v[10:11], off
	s_wait_loadcnt 0x0
	v_fmac_f32_e32 v12, s24, v1
	global_store_b32 v[10:11], v12, off
.LBB74_33:
	s_and_not1_b32 vcc_lo, exec_lo, s4
	s_cbranch_vccnz .LBB74_35
; %bb.34:
	s_wait_xcnt 0x0
	v_mul_u64_e32 v[10:11], s[2:3], v[4:5]
	v_mul_f32_e32 v12, s6, v2
	s_delay_alu instid0(VALU_DEP_2)
	v_lshl_add_u64 v[10:11], v[10:11], 2, v[6:7]
	global_load_b32 v1, v[10:11], off
	s_wait_loadcnt 0x0
	v_fmac_f32_e32 v12, s24, v1
	global_store_b32 v[10:11], v12, off
.LBB74_35:
	s_cbranch_execz .LBB74_37
	s_branch .LBB74_41
.LBB74_36:
.LBB74_37:
	v_mul_f32_e32 v1, s6, v2
	s_and_b32 vcc_lo, exec_lo, s1
	s_mov_b32 s4, -1
	s_cbranch_vccz .LBB74_39
; %bb.38:
	s_wait_xcnt 0x0
	v_lshl_add_u64 v[10:11], v[4:5], 2, v[8:9]
	s_mov_b32 s4, 0
	global_store_b32 v[10:11], v1, off
.LBB74_39:
	s_and_not1_b32 vcc_lo, exec_lo, s4
	s_cbranch_vccnz .LBB74_41
; %bb.40:
	v_mul_u64_e32 v[4:5], s[2:3], v[4:5]
	s_delay_alu instid0(VALU_DEP_1)
	v_lshl_add_u64 v[4:5], v[4:5], 2, v[6:7]
	global_store_b32 v[4:5], v1, off
.LBB74_41:
	s_wait_xcnt 0x0
	s_or_b32 exec_lo, exec_lo, s0
	v_cmp_gt_i32_e32 vcc_lo, s11, v0
	s_and_b32 exec_lo, exec_lo, vcc_lo
	s_cbranch_execz .LBB74_48
; %bb.42:
	v_cndmask_b32_e64 v2, 0, 1, s1
	v_ashrrev_i32_e32 v1, 31, v0
	s_and_not1_b32 vcc_lo, exec_lo, s7
	s_delay_alu instid0(VALU_DEP_2)
	v_cmp_ne_u32_e64 s0, 1, v2
	s_cbranch_vccnz .LBB74_49
; %bb.43:
	s_and_b32 vcc_lo, exec_lo, s0
	s_mov_b32 s0, -1
	s_cbranch_vccnz .LBB74_45
; %bb.44:
	v_lshl_add_u64 v[4:5], v[0:1], 2, v[8:9]
	v_mul_f32_e32 v10, s6, v3
	s_mov_b32 s0, 0
	global_load_b32 v2, v[4:5], off
	s_wait_loadcnt 0x0
	v_fmac_f32_e32 v10, s24, v2
	global_store_b32 v[4:5], v10, off
.LBB74_45:
	s_and_not1_b32 vcc_lo, exec_lo, s0
	s_cbranch_vccnz .LBB74_47
; %bb.46:
	s_wait_xcnt 0x0
	v_mul_u64_e32 v[4:5], s[2:3], v[0:1]
	v_mul_f32_e32 v10, s6, v3
	s_delay_alu instid0(VALU_DEP_2)
	v_lshl_add_u64 v[4:5], v[4:5], 2, v[6:7]
	global_load_b32 v2, v[4:5], off
	s_wait_loadcnt 0x0
	v_fmac_f32_e32 v10, s24, v2
	global_store_b32 v[4:5], v10, off
.LBB74_47:
	s_cbranch_execz .LBB74_50
.LBB74_48:
	s_endpgm
.LBB74_49:
.LBB74_50:
	v_mul_f32_e32 v2, s6, v3
	s_and_not1_b32 vcc_lo, exec_lo, s1
	s_mov_b32 s0, -1
	s_cbranch_vccnz .LBB74_52
; %bb.51:
	s_wait_xcnt 0x0
	v_lshl_add_u64 v[4:5], v[0:1], 2, v[8:9]
	s_mov_b32 s0, 0
	global_store_b32 v[4:5], v2, off
.LBB74_52:
	s_and_not1_b32 vcc_lo, exec_lo, s0
	s_cbranch_vccnz .LBB74_48
; %bb.53:
	v_mul_u64_e32 v[0:1], s[2:3], v[0:1]
	s_delay_alu instid0(VALU_DEP_1)
	v_lshl_add_u64 v[0:1], v[0:1], 2, v[6:7]
	global_store_b32 v[0:1], v2, off
	s_endpgm
	.section	.rodata,"a",@progbits
	.p2align	6, 0x0
	.amdhsa_kernel _ZN9rocsparseL31bsrmm_large_blockdim_kernel_extILj16ELj16ELj2EiiaaffEEvb20rocsparse_direction_T3_S2_llNS_24const_host_device_scalarIT7_EEPKT2_PKS2_PKT4_S2_PKT5_llS5_PT6_ll16rocsparse_order_21rocsparse_index_base_b
		.amdhsa_group_segment_fixed_size 3072
		.amdhsa_private_segment_fixed_size 0
		.amdhsa_kernarg_size 140
		.amdhsa_user_sgpr_count 2
		.amdhsa_user_sgpr_dispatch_ptr 0
		.amdhsa_user_sgpr_queue_ptr 0
		.amdhsa_user_sgpr_kernarg_segment_ptr 1
		.amdhsa_user_sgpr_dispatch_id 0
		.amdhsa_user_sgpr_kernarg_preload_length 0
		.amdhsa_user_sgpr_kernarg_preload_offset 0
		.amdhsa_user_sgpr_private_segment_size 0
		.amdhsa_wavefront_size32 1
		.amdhsa_uses_dynamic_stack 0
		.amdhsa_enable_private_segment 0
		.amdhsa_system_sgpr_workgroup_id_x 1
		.amdhsa_system_sgpr_workgroup_id_y 1
		.amdhsa_system_sgpr_workgroup_id_z 0
		.amdhsa_system_sgpr_workgroup_info 0
		.amdhsa_system_vgpr_workitem_id 1
		.amdhsa_next_free_vgpr 26
		.amdhsa_next_free_sgpr 30
		.amdhsa_named_barrier_count 0
		.amdhsa_reserve_vcc 1
		.amdhsa_float_round_mode_32 0
		.amdhsa_float_round_mode_16_64 0
		.amdhsa_float_denorm_mode_32 3
		.amdhsa_float_denorm_mode_16_64 3
		.amdhsa_fp16_overflow 0
		.amdhsa_memory_ordered 1
		.amdhsa_forward_progress 1
		.amdhsa_inst_pref_size 13
		.amdhsa_round_robin_scheduling 0
		.amdhsa_exception_fp_ieee_invalid_op 0
		.amdhsa_exception_fp_denorm_src 0
		.amdhsa_exception_fp_ieee_div_zero 0
		.amdhsa_exception_fp_ieee_overflow 0
		.amdhsa_exception_fp_ieee_underflow 0
		.amdhsa_exception_fp_ieee_inexact 0
		.amdhsa_exception_int_div_zero 0
	.end_amdhsa_kernel
	.section	.text._ZN9rocsparseL31bsrmm_large_blockdim_kernel_extILj16ELj16ELj2EiiaaffEEvb20rocsparse_direction_T3_S2_llNS_24const_host_device_scalarIT7_EEPKT2_PKS2_PKT4_S2_PKT5_llS5_PT6_ll16rocsparse_order_21rocsparse_index_base_b,"axG",@progbits,_ZN9rocsparseL31bsrmm_large_blockdim_kernel_extILj16ELj16ELj2EiiaaffEEvb20rocsparse_direction_T3_S2_llNS_24const_host_device_scalarIT7_EEPKT2_PKS2_PKT4_S2_PKT5_llS5_PT6_ll16rocsparse_order_21rocsparse_index_base_b,comdat
.Lfunc_end74:
	.size	_ZN9rocsparseL31bsrmm_large_blockdim_kernel_extILj16ELj16ELj2EiiaaffEEvb20rocsparse_direction_T3_S2_llNS_24const_host_device_scalarIT7_EEPKT2_PKS2_PKT4_S2_PKT5_llS5_PT6_ll16rocsparse_order_21rocsparse_index_base_b, .Lfunc_end74-_ZN9rocsparseL31bsrmm_large_blockdim_kernel_extILj16ELj16ELj2EiiaaffEEvb20rocsparse_direction_T3_S2_llNS_24const_host_device_scalarIT7_EEPKT2_PKS2_PKT4_S2_PKT5_llS5_PT6_ll16rocsparse_order_21rocsparse_index_base_b
                                        ; -- End function
	.set _ZN9rocsparseL31bsrmm_large_blockdim_kernel_extILj16ELj16ELj2EiiaaffEEvb20rocsparse_direction_T3_S2_llNS_24const_host_device_scalarIT7_EEPKT2_PKS2_PKT4_S2_PKT5_llS5_PT6_ll16rocsparse_order_21rocsparse_index_base_b.num_vgpr, 26
	.set _ZN9rocsparseL31bsrmm_large_blockdim_kernel_extILj16ELj16ELj2EiiaaffEEvb20rocsparse_direction_T3_S2_llNS_24const_host_device_scalarIT7_EEPKT2_PKS2_PKT4_S2_PKT5_llS5_PT6_ll16rocsparse_order_21rocsparse_index_base_b.num_agpr, 0
	.set _ZN9rocsparseL31bsrmm_large_blockdim_kernel_extILj16ELj16ELj2EiiaaffEEvb20rocsparse_direction_T3_S2_llNS_24const_host_device_scalarIT7_EEPKT2_PKS2_PKT4_S2_PKT5_llS5_PT6_ll16rocsparse_order_21rocsparse_index_base_b.numbered_sgpr, 30
	.set _ZN9rocsparseL31bsrmm_large_blockdim_kernel_extILj16ELj16ELj2EiiaaffEEvb20rocsparse_direction_T3_S2_llNS_24const_host_device_scalarIT7_EEPKT2_PKS2_PKT4_S2_PKT5_llS5_PT6_ll16rocsparse_order_21rocsparse_index_base_b.num_named_barrier, 0
	.set _ZN9rocsparseL31bsrmm_large_blockdim_kernel_extILj16ELj16ELj2EiiaaffEEvb20rocsparse_direction_T3_S2_llNS_24const_host_device_scalarIT7_EEPKT2_PKS2_PKT4_S2_PKT5_llS5_PT6_ll16rocsparse_order_21rocsparse_index_base_b.private_seg_size, 0
	.set _ZN9rocsparseL31bsrmm_large_blockdim_kernel_extILj16ELj16ELj2EiiaaffEEvb20rocsparse_direction_T3_S2_llNS_24const_host_device_scalarIT7_EEPKT2_PKS2_PKT4_S2_PKT5_llS5_PT6_ll16rocsparse_order_21rocsparse_index_base_b.uses_vcc, 1
	.set _ZN9rocsparseL31bsrmm_large_blockdim_kernel_extILj16ELj16ELj2EiiaaffEEvb20rocsparse_direction_T3_S2_llNS_24const_host_device_scalarIT7_EEPKT2_PKS2_PKT4_S2_PKT5_llS5_PT6_ll16rocsparse_order_21rocsparse_index_base_b.uses_flat_scratch, 0
	.set _ZN9rocsparseL31bsrmm_large_blockdim_kernel_extILj16ELj16ELj2EiiaaffEEvb20rocsparse_direction_T3_S2_llNS_24const_host_device_scalarIT7_EEPKT2_PKS2_PKT4_S2_PKT5_llS5_PT6_ll16rocsparse_order_21rocsparse_index_base_b.has_dyn_sized_stack, 0
	.set _ZN9rocsparseL31bsrmm_large_blockdim_kernel_extILj16ELj16ELj2EiiaaffEEvb20rocsparse_direction_T3_S2_llNS_24const_host_device_scalarIT7_EEPKT2_PKS2_PKT4_S2_PKT5_llS5_PT6_ll16rocsparse_order_21rocsparse_index_base_b.has_recursion, 0
	.set _ZN9rocsparseL31bsrmm_large_blockdim_kernel_extILj16ELj16ELj2EiiaaffEEvb20rocsparse_direction_T3_S2_llNS_24const_host_device_scalarIT7_EEPKT2_PKS2_PKT4_S2_PKT5_llS5_PT6_ll16rocsparse_order_21rocsparse_index_base_b.has_indirect_call, 0
	.section	.AMDGPU.csdata,"",@progbits
; Kernel info:
; codeLenInByte = 1640
; TotalNumSgprs: 32
; NumVgprs: 26
; ScratchSize: 0
; MemoryBound: 0
; FloatMode: 240
; IeeeMode: 1
; LDSByteSize: 3072 bytes/workgroup (compile time only)
; SGPRBlocks: 0
; VGPRBlocks: 1
; NumSGPRsForWavesPerEU: 32
; NumVGPRsForWavesPerEU: 26
; NamedBarCnt: 0
; Occupancy: 16
; WaveLimiterHint : 1
; COMPUTE_PGM_RSRC2:SCRATCH_EN: 0
; COMPUTE_PGM_RSRC2:USER_SGPR: 2
; COMPUTE_PGM_RSRC2:TRAP_HANDLER: 0
; COMPUTE_PGM_RSRC2:TGID_X_EN: 1
; COMPUTE_PGM_RSRC2:TGID_Y_EN: 1
; COMPUTE_PGM_RSRC2:TGID_Z_EN: 0
; COMPUTE_PGM_RSRC2:TIDIG_COMP_CNT: 1
	.section	.text._ZN9rocsparseL31bsrmm_large_blockdim_kernel_extILj32ELj32ELj2EiiaaffEEvb20rocsparse_direction_T3_S2_llNS_24const_host_device_scalarIT7_EEPKT2_PKS2_PKT4_S2_PKT5_llS5_PT6_ll16rocsparse_order_21rocsparse_index_base_b,"axG",@progbits,_ZN9rocsparseL31bsrmm_large_blockdim_kernel_extILj32ELj32ELj2EiiaaffEEvb20rocsparse_direction_T3_S2_llNS_24const_host_device_scalarIT7_EEPKT2_PKS2_PKT4_S2_PKT5_llS5_PT6_ll16rocsparse_order_21rocsparse_index_base_b,comdat
	.globl	_ZN9rocsparseL31bsrmm_large_blockdim_kernel_extILj32ELj32ELj2EiiaaffEEvb20rocsparse_direction_T3_S2_llNS_24const_host_device_scalarIT7_EEPKT2_PKS2_PKT4_S2_PKT5_llS5_PT6_ll16rocsparse_order_21rocsparse_index_base_b ; -- Begin function _ZN9rocsparseL31bsrmm_large_blockdim_kernel_extILj32ELj32ELj2EiiaaffEEvb20rocsparse_direction_T3_S2_llNS_24const_host_device_scalarIT7_EEPKT2_PKS2_PKT4_S2_PKT5_llS5_PT6_ll16rocsparse_order_21rocsparse_index_base_b
	.p2align	8
	.type	_ZN9rocsparseL31bsrmm_large_blockdim_kernel_extILj32ELj32ELj2EiiaaffEEvb20rocsparse_direction_T3_S2_llNS_24const_host_device_scalarIT7_EEPKT2_PKS2_PKT4_S2_PKT5_llS5_PT6_ll16rocsparse_order_21rocsparse_index_base_b,@function
_ZN9rocsparseL31bsrmm_large_blockdim_kernel_extILj32ELj32ELj2EiiaaffEEvb20rocsparse_direction_T3_S2_llNS_24const_host_device_scalarIT7_EEPKT2_PKS2_PKT4_S2_PKT5_llS5_PT6_ll16rocsparse_order_21rocsparse_index_base_b: ; @_ZN9rocsparseL31bsrmm_large_blockdim_kernel_extILj32ELj32ELj2EiiaaffEEvb20rocsparse_direction_T3_S2_llNS_24const_host_device_scalarIT7_EEPKT2_PKS2_PKT4_S2_PKT5_llS5_PT6_ll16rocsparse_order_21rocsparse_index_base_b
; %bb.0:
	s_clause 0x2
	s_load_b96 s[20:22], s[0:1], 0x80
	s_load_b64 s[6:7], s[0:1], 0x20
	s_load_b64 s[24:25], s[0:1], 0x60
	s_wait_kmcnt 0x0
	s_bitcmp1_b32 s22, 0
	s_cselect_b32 s2, -1, 0
	s_delay_alu instid0(SALU_CYCLE_1)
	s_and_b32 vcc_lo, exec_lo, s2
	s_xor_b32 s2, s2, -1
	s_cbranch_vccnz .LBB75_2
; %bb.1:
	s_load_b32 s6, s[6:7], 0x0
.LBB75_2:
	s_and_not1_b32 vcc_lo, exec_lo, s2
	s_cbranch_vccnz .LBB75_4
; %bb.3:
	s_load_b32 s24, s[24:25], 0x0
.LBB75_4:
	s_wait_kmcnt 0x0
	s_cmp_eq_f32 s6, 0
	s_mov_b32 s26, 0
	s_cselect_b32 s2, -1, 0
	s_cmp_eq_f32 s24, 1.0
	s_cselect_b32 s3, -1, 0
	s_delay_alu instid0(SALU_CYCLE_1) | instskip(NEXT) | instid1(SALU_CYCLE_1)
	s_and_b32 s2, s2, s3
	s_and_b32 vcc_lo, exec_lo, s2
	s_cbranch_vccnz .LBB75_48
; %bb.5:
	s_clause 0x1
	s_load_b128 s[8:11], s[0:1], 0x0
	s_load_b64 s[2:3], s[0:1], 0x28
	s_bfe_u32 s4, ttmp6, 0x4000c
	s_and_b32 s5, ttmp6, 15
	s_add_co_i32 s4, s4, 1
	s_delay_alu instid0(SALU_CYCLE_1)
	s_mul_i32 s7, ttmp9, s4
	s_getreg_b32 s4, hwreg(HW_REG_IB_STS2, 6, 4)
	s_add_co_i32 s5, s5, s7
	s_cmp_eq_u32 s4, 0
	s_cselect_b32 s22, ttmp9, s5
	s_wait_kmcnt 0x0
	s_cmp_lt_i32 s22, s10
	s_cselect_b32 s7, -1, 0
	s_cmp_ge_i32 s22, s10
	s_cbranch_scc1 .LBB75_7
; %bb.6:
	s_ashr_i32 s23, s22, 31
	s_delay_alu instid0(SALU_CYCLE_1) | instskip(NEXT) | instid1(SALU_CYCLE_1)
	s_lshl_b64 s[12:13], s[22:23], 2
	s_add_nc_u64 s[12:13], s[2:3], s[12:13]
	s_load_b32 s5, s[12:13], 0x0
	s_wait_kmcnt 0x0
	s_sub_co_i32 s26, s5, s21
.LBB75_7:
	s_and_not1_b32 vcc_lo, exec_lo, s7
	s_mov_b32 s23, 0
	s_cbranch_vccnz .LBB75_9
; %bb.8:
	s_ashr_i32 s23, s22, 31
	s_delay_alu instid0(SALU_CYCLE_1) | instskip(NEXT) | instid1(SALU_CYCLE_1)
	s_lshl_b64 s[12:13], s[22:23], 2
	s_add_nc_u64 s[2:3], s[2:3], s[12:13]
	s_load_b32 s2, s[2:3], 0x4
	s_wait_kmcnt 0x0
	s_sub_co_i32 s23, s2, s21
.LBB75_9:
	s_bfe_u32 s2, ttmp6, 0x40010
	s_bfe_u32 s3, ttmp6, 0x40004
	s_add_co_i32 s2, s2, 1
	s_load_b32 s10, s[0:1], 0x40
	s_mul_i32 s2, ttmp7, s2
	v_bfe_u32 v2, v0, 10, 10
	s_add_co_i32 s3, s3, s2
	s_cmp_eq_u32 s4, 0
	v_and_b32_e32 v14, 0x3ff, v0
	s_cselect_b32 s2, ttmp7, s3
	s_cmp_ge_i32 s26, s23
	v_lshl_add_u32 v4, s2, 6, v2
	s_delay_alu instid0(VALU_DEP_1) | instskip(SKIP_1) | instid1(VALU_DEP_2)
	v_add_nc_u32_e32 v0, 32, v4
	v_cmp_gt_i32_e64 s2, s11, v4
	v_cmp_gt_i32_e64 s3, s11, v0
	s_wait_kmcnt 0x0
	v_cmp_gt_i32_e32 vcc_lo, s10, v14
	s_cbranch_scc1 .LBB75_27
; %bb.10:
	s_clause 0x1
	s_load_b128 s[12:15], s[0:1], 0x48
	s_load_b128 s[16:19], s[0:1], 0x30
	v_dual_ashrrev_i32 v5, 31, v4 :: v_dual_lshlrev_b32 v15, 7, v2
	v_dual_ashrrev_i32 v1, 31, v0 :: v_dual_lshlrev_b32 v12, 7, v14
	v_cmp_gt_i32_e64 s4, s10, v2
	v_mad_u32 v3, s10, v2, v14
	v_mad_u32 v10, s10, v14, v2
	v_lshl_or_b32 v11, v2, 2, 0x2000
	v_lshlrev_b32_e32 v13, 2, v14
	s_and_b32 s25, vcc_lo, s4
	s_bitcmp1_b32 s8, 0
	v_add_nc_u32_e32 v17, 0x2000, v12
	s_cselect_b32 s4, -1, 0
	s_cmp_eq_u32 s9, 0
	v_add_nc_u32_e32 v20, v11, v12
	s_cselect_b32 s5, -1, 0
	v_add_nc_u32_e32 v18, 0x1000, v15
	v_dual_cndmask_b32 v16, v3, v10, s5 :: v_dual_add_nc_u32 v19, v13, v15
	s_wait_kmcnt 0x0
	v_mul_u64_e32 v[6:7], s[14:15], v[4:5]
	v_mul_u64_e32 v[8:9], s[14:15], v[0:1]
	v_mov_b64_e32 v[2:3], 0
	s_mul_i32 s5, s10, s10
	s_branch .LBB75_13
.LBB75_11:                              ;   in Loop: Header=BB75_13 Depth=1
	s_or_b32 exec_lo, exec_lo, s9
.LBB75_12:                              ;   in Loop: Header=BB75_13 Depth=1
	s_delay_alu instid0(SALU_CYCLE_1) | instskip(SKIP_1) | instid1(SALU_CYCLE_1)
	s_or_b32 exec_lo, exec_lo, s8
	s_add_co_i32 s26, s26, 1
	s_cmp_ge_i32 s26, s23
	s_barrier_signal -1
	s_barrier_wait -1
	s_cbranch_scc1 .LBB75_28
.LBB75_13:                              ; =>This Loop Header: Depth=1
                                        ;     Child Loop BB75_23 Depth 2
                                        ;     Child Loop BB75_26 Depth 2
	s_and_saveexec_b32 s8, vcc_lo
	s_cbranch_execz .LBB75_18
; %bb.14:                               ;   in Loop: Header=BB75_13 Depth=1
	s_ashr_i32 s27, s26, 31
	s_delay_alu instid0(SALU_CYCLE_1) | instskip(NEXT) | instid1(SALU_CYCLE_1)
	s_lshl_b64 s[28:29], s[26:27], 2
	s_add_nc_u64 s[28:29], s[16:17], s[28:29]
	s_load_b32 s9, s[28:29], 0x0
	s_wait_kmcnt 0x0
	s_sub_co_i32 s9, s9, s21
	s_delay_alu instid0(SALU_CYCLE_1) | instskip(NEXT) | instid1(VALU_DEP_1)
	v_mad_u32 v12, s9, s10, v14
	v_mad_nc_u64_u32 v[10:11], s14, v12, s[12:13]
	v_ashrrev_i32_e32 v13, 31, v12
	s_delay_alu instid0(VALU_DEP_2) | instskip(NEXT) | instid1(VALU_DEP_1)
	v_mad_u32 v11, s15, v12, v11
	v_mad_u32 v11, s14, v13, v11
	v_add_nc_u64_e32 v[12:13], s[12:13], v[12:13]
	s_and_saveexec_b32 s9, s2
	s_cbranch_execz .LBB75_16
; %bb.15:                               ;   in Loop: Header=BB75_13 Depth=1
	s_delay_alu instid0(VALU_DEP_2) | instskip(NEXT) | instid1(VALU_DEP_2)
	v_add_nc_u64_e32 v[22:23], v[10:11], v[4:5]
	v_add_nc_u64_e32 v[24:25], v[12:13], v[6:7]
	s_delay_alu instid0(VALU_DEP_1)
	v_dual_cndmask_b32 v23, v23, v25, s4 :: v_dual_cndmask_b32 v22, v22, v24, s4
	global_load_i8 v21, v[22:23], off
	s_wait_loadcnt 0x0
	v_cvt_f32_i32_e32 v21, v21
	ds_store_b32 v19, v21
.LBB75_16:                              ;   in Loop: Header=BB75_13 Depth=1
	s_or_b32 exec_lo, exec_lo, s9
	s_delay_alu instid0(SALU_CYCLE_1)
	s_and_b32 exec_lo, exec_lo, s3
	s_cbranch_execz .LBB75_18
; %bb.17:                               ;   in Loop: Header=BB75_13 Depth=1
	s_delay_alu instid0(VALU_DEP_1) | instskip(NEXT) | instid1(VALU_DEP_3)
	v_add_nc_u64_e32 v[12:13], v[12:13], v[8:9]
	v_add_nc_u64_e32 v[10:11], v[10:11], v[0:1]
	s_delay_alu instid0(VALU_DEP_1)
	v_dual_cndmask_b32 v11, v11, v13, s4 :: v_dual_cndmask_b32 v10, v10, v12, s4
	global_load_i8 v10, v[10:11], off
	s_wait_loadcnt 0x0
	v_cvt_f32_i32_e32 v10, v10
	ds_store_b32 v19, v10 offset:4096
.LBB75_18:                              ;   in Loop: Header=BB75_13 Depth=1
	s_or_b32 exec_lo, exec_lo, s8
	s_and_saveexec_b32 s8, s25
	s_cbranch_execz .LBB75_20
; %bb.19:                               ;   in Loop: Header=BB75_13 Depth=1
	v_mad_u32 v10, s5, s26, v16
	global_load_i8 v10, v10, s[18:19]
	s_wait_loadcnt 0x0
	v_cvt_f32_i32_e32 v10, v10
	ds_store_b32 v20, v10
.LBB75_20:                              ;   in Loop: Header=BB75_13 Depth=1
	s_or_b32 exec_lo, exec_lo, s8
	s_wait_dscnt 0x0
	s_barrier_signal -1
	s_barrier_wait -1
	s_and_saveexec_b32 s8, vcc_lo
	s_cbranch_execz .LBB75_12
; %bb.21:                               ;   in Loop: Header=BB75_13 Depth=1
	s_and_saveexec_b32 s9, s2
	s_cbranch_execz .LBB75_24
; %bb.22:                               ;   in Loop: Header=BB75_13 Depth=1
	v_dual_mov_b32 v10, v17 :: v_dual_mov_b32 v11, v15
	s_mov_b32 s27, s10
.LBB75_23:                              ;   Parent Loop BB75_13 Depth=1
                                        ; =>  This Inner Loop Header: Depth=2
	ds_load_b32 v12, v10
	ds_load_b32 v13, v11
	v_dual_add_nc_u32 v11, 4, v11 :: v_dual_add_nc_u32 v10, 4, v10
	s_add_co_i32 s27, s27, -1
	s_delay_alu instid0(SALU_CYCLE_1)
	s_cmp_lg_u32 s27, 0
	s_wait_dscnt 0x0
	v_fma_f32 v2, v12, v13, v2
	s_cbranch_scc1 .LBB75_23
.LBB75_24:                              ;   in Loop: Header=BB75_13 Depth=1
	s_or_b32 exec_lo, exec_lo, s9
	s_and_saveexec_b32 s9, s3
	s_cbranch_execz .LBB75_11
; %bb.25:                               ;   in Loop: Header=BB75_13 Depth=1
	v_dual_mov_b32 v10, v17 :: v_dual_mov_b32 v11, v18
	s_mov_b32 s27, s10
.LBB75_26:                              ;   Parent Loop BB75_13 Depth=1
                                        ; =>  This Inner Loop Header: Depth=2
	ds_load_b32 v12, v10
	ds_load_b32 v13, v11
	v_dual_add_nc_u32 v11, 4, v11 :: v_dual_add_nc_u32 v10, 4, v10
	s_add_co_i32 s27, s27, -1
	s_delay_alu instid0(SALU_CYCLE_1)
	s_cmp_lg_u32 s27, 0
	s_wait_dscnt 0x0
	v_fma_f32 v3, v12, v13, v3
	s_cbranch_scc1 .LBB75_26
	s_branch .LBB75_11
.LBB75_27:
	v_mov_b64_e32 v[2:3], 0
.LBB75_28:
	s_load_b64 s[4:5], s[0:1], 0x68
	s_and_b32 s2, s7, vcc_lo
	s_delay_alu instid0(SALU_CYCLE_1)
	s_and_saveexec_b32 s3, s2
	s_cbranch_execz .LBB75_48
; %bb.29:
	s_load_b64 s[2:3], s[0:1], 0x70
	v_mad_u32 v6, s10, s22, v14
	s_cmp_neq_f32 s24, 0
	s_wait_xcnt 0x0
	s_mov_b32 s0, exec_lo
	s_cselect_b32 s7, -1, 0
	s_cmp_lg_u32 s20, 1
	s_cselect_b32 s1, -1, 0
	s_delay_alu instid0(VALU_DEP_1) | instskip(SKIP_1) | instid1(VALU_DEP_1)
	v_ashrrev_i32_e32 v7, 31, v6
	s_wait_kmcnt 0x0
	v_mul_u64_e32 v[8:9], s[2:3], v[6:7]
	v_lshl_add_u64 v[6:7], v[6:7], 2, s[4:5]
	s_delay_alu instid0(VALU_DEP_2)
	v_lshl_add_u64 v[8:9], v[8:9], 2, s[4:5]
	v_cmpx_gt_i32_e64 s11, v4
	s_cbranch_execz .LBB75_41
; %bb.30:
	v_ashrrev_i32_e32 v5, 31, v4
	s_and_b32 vcc_lo, exec_lo, s7
	s_cbranch_vccz .LBB75_36
; %bb.31:
	s_and_b32 vcc_lo, exec_lo, s1
	s_mov_b32 s4, -1
	s_cbranch_vccz .LBB75_33
; %bb.32:
	v_lshl_add_u64 v[10:11], v[4:5], 2, v[8:9]
	v_mul_f32_e32 v12, s6, v2
	s_mov_b32 s4, 0
	global_load_b32 v1, v[10:11], off
	s_wait_loadcnt 0x0
	v_fmac_f32_e32 v12, s24, v1
	global_store_b32 v[10:11], v12, off
.LBB75_33:
	s_and_not1_b32 vcc_lo, exec_lo, s4
	s_cbranch_vccnz .LBB75_35
; %bb.34:
	s_wait_xcnt 0x0
	v_mul_u64_e32 v[10:11], s[2:3], v[4:5]
	v_mul_f32_e32 v12, s6, v2
	s_delay_alu instid0(VALU_DEP_2)
	v_lshl_add_u64 v[10:11], v[10:11], 2, v[6:7]
	global_load_b32 v1, v[10:11], off
	s_wait_loadcnt 0x0
	v_fmac_f32_e32 v12, s24, v1
	global_store_b32 v[10:11], v12, off
.LBB75_35:
	s_cbranch_execz .LBB75_37
	s_branch .LBB75_41
.LBB75_36:
.LBB75_37:
	v_mul_f32_e32 v1, s6, v2
	s_and_b32 vcc_lo, exec_lo, s1
	s_mov_b32 s4, -1
	s_cbranch_vccz .LBB75_39
; %bb.38:
	s_wait_xcnt 0x0
	v_lshl_add_u64 v[10:11], v[4:5], 2, v[8:9]
	s_mov_b32 s4, 0
	global_store_b32 v[10:11], v1, off
.LBB75_39:
	s_and_not1_b32 vcc_lo, exec_lo, s4
	s_cbranch_vccnz .LBB75_41
; %bb.40:
	v_mul_u64_e32 v[4:5], s[2:3], v[4:5]
	s_delay_alu instid0(VALU_DEP_1)
	v_lshl_add_u64 v[4:5], v[4:5], 2, v[6:7]
	global_store_b32 v[4:5], v1, off
.LBB75_41:
	s_wait_xcnt 0x0
	s_or_b32 exec_lo, exec_lo, s0
	v_cmp_gt_i32_e32 vcc_lo, s11, v0
	s_and_b32 exec_lo, exec_lo, vcc_lo
	s_cbranch_execz .LBB75_48
; %bb.42:
	v_cndmask_b32_e64 v2, 0, 1, s1
	v_ashrrev_i32_e32 v1, 31, v0
	s_and_not1_b32 vcc_lo, exec_lo, s7
	s_delay_alu instid0(VALU_DEP_2)
	v_cmp_ne_u32_e64 s0, 1, v2
	s_cbranch_vccnz .LBB75_49
; %bb.43:
	s_and_b32 vcc_lo, exec_lo, s0
	s_mov_b32 s0, -1
	s_cbranch_vccnz .LBB75_45
; %bb.44:
	v_lshl_add_u64 v[4:5], v[0:1], 2, v[8:9]
	v_mul_f32_e32 v10, s6, v3
	s_mov_b32 s0, 0
	global_load_b32 v2, v[4:5], off
	s_wait_loadcnt 0x0
	v_fmac_f32_e32 v10, s24, v2
	global_store_b32 v[4:5], v10, off
.LBB75_45:
	s_and_not1_b32 vcc_lo, exec_lo, s0
	s_cbranch_vccnz .LBB75_47
; %bb.46:
	s_wait_xcnt 0x0
	v_mul_u64_e32 v[4:5], s[2:3], v[0:1]
	v_mul_f32_e32 v10, s6, v3
	s_delay_alu instid0(VALU_DEP_2)
	v_lshl_add_u64 v[4:5], v[4:5], 2, v[6:7]
	global_load_b32 v2, v[4:5], off
	s_wait_loadcnt 0x0
	v_fmac_f32_e32 v10, s24, v2
	global_store_b32 v[4:5], v10, off
.LBB75_47:
	s_cbranch_execz .LBB75_50
.LBB75_48:
	s_endpgm
.LBB75_49:
.LBB75_50:
	v_mul_f32_e32 v2, s6, v3
	s_and_not1_b32 vcc_lo, exec_lo, s1
	s_mov_b32 s0, -1
	s_cbranch_vccnz .LBB75_52
; %bb.51:
	s_wait_xcnt 0x0
	v_lshl_add_u64 v[4:5], v[0:1], 2, v[8:9]
	s_mov_b32 s0, 0
	global_store_b32 v[4:5], v2, off
.LBB75_52:
	s_and_not1_b32 vcc_lo, exec_lo, s0
	s_cbranch_vccnz .LBB75_48
; %bb.53:
	v_mul_u64_e32 v[0:1], s[2:3], v[0:1]
	s_delay_alu instid0(VALU_DEP_1)
	v_lshl_add_u64 v[0:1], v[0:1], 2, v[6:7]
	global_store_b32 v[0:1], v2, off
	s_endpgm
	.section	.rodata,"a",@progbits
	.p2align	6, 0x0
	.amdhsa_kernel _ZN9rocsparseL31bsrmm_large_blockdim_kernel_extILj32ELj32ELj2EiiaaffEEvb20rocsparse_direction_T3_S2_llNS_24const_host_device_scalarIT7_EEPKT2_PKS2_PKT4_S2_PKT5_llS5_PT6_ll16rocsparse_order_21rocsparse_index_base_b
		.amdhsa_group_segment_fixed_size 12288
		.amdhsa_private_segment_fixed_size 0
		.amdhsa_kernarg_size 140
		.amdhsa_user_sgpr_count 2
		.amdhsa_user_sgpr_dispatch_ptr 0
		.amdhsa_user_sgpr_queue_ptr 0
		.amdhsa_user_sgpr_kernarg_segment_ptr 1
		.amdhsa_user_sgpr_dispatch_id 0
		.amdhsa_user_sgpr_kernarg_preload_length 0
		.amdhsa_user_sgpr_kernarg_preload_offset 0
		.amdhsa_user_sgpr_private_segment_size 0
		.amdhsa_wavefront_size32 1
		.amdhsa_uses_dynamic_stack 0
		.amdhsa_enable_private_segment 0
		.amdhsa_system_sgpr_workgroup_id_x 1
		.amdhsa_system_sgpr_workgroup_id_y 1
		.amdhsa_system_sgpr_workgroup_id_z 0
		.amdhsa_system_sgpr_workgroup_info 0
		.amdhsa_system_vgpr_workitem_id 1
		.amdhsa_next_free_vgpr 26
		.amdhsa_next_free_sgpr 30
		.amdhsa_named_barrier_count 0
		.amdhsa_reserve_vcc 1
		.amdhsa_float_round_mode_32 0
		.amdhsa_float_round_mode_16_64 0
		.amdhsa_float_denorm_mode_32 3
		.amdhsa_float_denorm_mode_16_64 3
		.amdhsa_fp16_overflow 0
		.amdhsa_memory_ordered 1
		.amdhsa_forward_progress 1
		.amdhsa_inst_pref_size 13
		.amdhsa_round_robin_scheduling 0
		.amdhsa_exception_fp_ieee_invalid_op 0
		.amdhsa_exception_fp_denorm_src 0
		.amdhsa_exception_fp_ieee_div_zero 0
		.amdhsa_exception_fp_ieee_overflow 0
		.amdhsa_exception_fp_ieee_underflow 0
		.amdhsa_exception_fp_ieee_inexact 0
		.amdhsa_exception_int_div_zero 0
	.end_amdhsa_kernel
	.section	.text._ZN9rocsparseL31bsrmm_large_blockdim_kernel_extILj32ELj32ELj2EiiaaffEEvb20rocsparse_direction_T3_S2_llNS_24const_host_device_scalarIT7_EEPKT2_PKS2_PKT4_S2_PKT5_llS5_PT6_ll16rocsparse_order_21rocsparse_index_base_b,"axG",@progbits,_ZN9rocsparseL31bsrmm_large_blockdim_kernel_extILj32ELj32ELj2EiiaaffEEvb20rocsparse_direction_T3_S2_llNS_24const_host_device_scalarIT7_EEPKT2_PKS2_PKT4_S2_PKT5_llS5_PT6_ll16rocsparse_order_21rocsparse_index_base_b,comdat
.Lfunc_end75:
	.size	_ZN9rocsparseL31bsrmm_large_blockdim_kernel_extILj32ELj32ELj2EiiaaffEEvb20rocsparse_direction_T3_S2_llNS_24const_host_device_scalarIT7_EEPKT2_PKS2_PKT4_S2_PKT5_llS5_PT6_ll16rocsparse_order_21rocsparse_index_base_b, .Lfunc_end75-_ZN9rocsparseL31bsrmm_large_blockdim_kernel_extILj32ELj32ELj2EiiaaffEEvb20rocsparse_direction_T3_S2_llNS_24const_host_device_scalarIT7_EEPKT2_PKS2_PKT4_S2_PKT5_llS5_PT6_ll16rocsparse_order_21rocsparse_index_base_b
                                        ; -- End function
	.set _ZN9rocsparseL31bsrmm_large_blockdim_kernel_extILj32ELj32ELj2EiiaaffEEvb20rocsparse_direction_T3_S2_llNS_24const_host_device_scalarIT7_EEPKT2_PKS2_PKT4_S2_PKT5_llS5_PT6_ll16rocsparse_order_21rocsparse_index_base_b.num_vgpr, 26
	.set _ZN9rocsparseL31bsrmm_large_blockdim_kernel_extILj32ELj32ELj2EiiaaffEEvb20rocsparse_direction_T3_S2_llNS_24const_host_device_scalarIT7_EEPKT2_PKS2_PKT4_S2_PKT5_llS5_PT6_ll16rocsparse_order_21rocsparse_index_base_b.num_agpr, 0
	.set _ZN9rocsparseL31bsrmm_large_blockdim_kernel_extILj32ELj32ELj2EiiaaffEEvb20rocsparse_direction_T3_S2_llNS_24const_host_device_scalarIT7_EEPKT2_PKS2_PKT4_S2_PKT5_llS5_PT6_ll16rocsparse_order_21rocsparse_index_base_b.numbered_sgpr, 30
	.set _ZN9rocsparseL31bsrmm_large_blockdim_kernel_extILj32ELj32ELj2EiiaaffEEvb20rocsparse_direction_T3_S2_llNS_24const_host_device_scalarIT7_EEPKT2_PKS2_PKT4_S2_PKT5_llS5_PT6_ll16rocsparse_order_21rocsparse_index_base_b.num_named_barrier, 0
	.set _ZN9rocsparseL31bsrmm_large_blockdim_kernel_extILj32ELj32ELj2EiiaaffEEvb20rocsparse_direction_T3_S2_llNS_24const_host_device_scalarIT7_EEPKT2_PKS2_PKT4_S2_PKT5_llS5_PT6_ll16rocsparse_order_21rocsparse_index_base_b.private_seg_size, 0
	.set _ZN9rocsparseL31bsrmm_large_blockdim_kernel_extILj32ELj32ELj2EiiaaffEEvb20rocsparse_direction_T3_S2_llNS_24const_host_device_scalarIT7_EEPKT2_PKS2_PKT4_S2_PKT5_llS5_PT6_ll16rocsparse_order_21rocsparse_index_base_b.uses_vcc, 1
	.set _ZN9rocsparseL31bsrmm_large_blockdim_kernel_extILj32ELj32ELj2EiiaaffEEvb20rocsparse_direction_T3_S2_llNS_24const_host_device_scalarIT7_EEPKT2_PKS2_PKT4_S2_PKT5_llS5_PT6_ll16rocsparse_order_21rocsparse_index_base_b.uses_flat_scratch, 0
	.set _ZN9rocsparseL31bsrmm_large_blockdim_kernel_extILj32ELj32ELj2EiiaaffEEvb20rocsparse_direction_T3_S2_llNS_24const_host_device_scalarIT7_EEPKT2_PKS2_PKT4_S2_PKT5_llS5_PT6_ll16rocsparse_order_21rocsparse_index_base_b.has_dyn_sized_stack, 0
	.set _ZN9rocsparseL31bsrmm_large_blockdim_kernel_extILj32ELj32ELj2EiiaaffEEvb20rocsparse_direction_T3_S2_llNS_24const_host_device_scalarIT7_EEPKT2_PKS2_PKT4_S2_PKT5_llS5_PT6_ll16rocsparse_order_21rocsparse_index_base_b.has_recursion, 0
	.set _ZN9rocsparseL31bsrmm_large_blockdim_kernel_extILj32ELj32ELj2EiiaaffEEvb20rocsparse_direction_T3_S2_llNS_24const_host_device_scalarIT7_EEPKT2_PKS2_PKT4_S2_PKT5_llS5_PT6_ll16rocsparse_order_21rocsparse_index_base_b.has_indirect_call, 0
	.section	.AMDGPU.csdata,"",@progbits
; Kernel info:
; codeLenInByte = 1640
; TotalNumSgprs: 32
; NumVgprs: 26
; ScratchSize: 0
; MemoryBound: 0
; FloatMode: 240
; IeeeMode: 1
; LDSByteSize: 12288 bytes/workgroup (compile time only)
; SGPRBlocks: 0
; VGPRBlocks: 1
; NumSGPRsForWavesPerEU: 32
; NumVGPRsForWavesPerEU: 26
; NamedBarCnt: 0
; Occupancy: 16
; WaveLimiterHint : 1
; COMPUTE_PGM_RSRC2:SCRATCH_EN: 0
; COMPUTE_PGM_RSRC2:USER_SGPR: 2
; COMPUTE_PGM_RSRC2:TRAP_HANDLER: 0
; COMPUTE_PGM_RSRC2:TGID_X_EN: 1
; COMPUTE_PGM_RSRC2:TGID_Y_EN: 1
; COMPUTE_PGM_RSRC2:TGID_Z_EN: 0
; COMPUTE_PGM_RSRC2:TIDIG_COMP_CNT: 1
	.section	.text._ZN9rocsparseL31bsrmm_large_blockdim_kernel_extILj8ELj8ELj2EliaaffEEvb20rocsparse_direction_T3_S2_llNS_24const_host_device_scalarIT7_EEPKT2_PKS2_PKT4_S2_PKT5_llS5_PT6_ll16rocsparse_order_21rocsparse_index_base_b,"axG",@progbits,_ZN9rocsparseL31bsrmm_large_blockdim_kernel_extILj8ELj8ELj2EliaaffEEvb20rocsparse_direction_T3_S2_llNS_24const_host_device_scalarIT7_EEPKT2_PKS2_PKT4_S2_PKT5_llS5_PT6_ll16rocsparse_order_21rocsparse_index_base_b,comdat
	.globl	_ZN9rocsparseL31bsrmm_large_blockdim_kernel_extILj8ELj8ELj2EliaaffEEvb20rocsparse_direction_T3_S2_llNS_24const_host_device_scalarIT7_EEPKT2_PKS2_PKT4_S2_PKT5_llS5_PT6_ll16rocsparse_order_21rocsparse_index_base_b ; -- Begin function _ZN9rocsparseL31bsrmm_large_blockdim_kernel_extILj8ELj8ELj2EliaaffEEvb20rocsparse_direction_T3_S2_llNS_24const_host_device_scalarIT7_EEPKT2_PKS2_PKT4_S2_PKT5_llS5_PT6_ll16rocsparse_order_21rocsparse_index_base_b
	.p2align	8
	.type	_ZN9rocsparseL31bsrmm_large_blockdim_kernel_extILj8ELj8ELj2EliaaffEEvb20rocsparse_direction_T3_S2_llNS_24const_host_device_scalarIT7_EEPKT2_PKS2_PKT4_S2_PKT5_llS5_PT6_ll16rocsparse_order_21rocsparse_index_base_b,@function
_ZN9rocsparseL31bsrmm_large_blockdim_kernel_extILj8ELj8ELj2EliaaffEEvb20rocsparse_direction_T3_S2_llNS_24const_host_device_scalarIT7_EEPKT2_PKS2_PKT4_S2_PKT5_llS5_PT6_ll16rocsparse_order_21rocsparse_index_base_b: ; @_ZN9rocsparseL31bsrmm_large_blockdim_kernel_extILj8ELj8ELj2EliaaffEEvb20rocsparse_direction_T3_S2_llNS_24const_host_device_scalarIT7_EEPKT2_PKS2_PKT4_S2_PKT5_llS5_PT6_ll16rocsparse_order_21rocsparse_index_base_b
; %bb.0:
	s_clause 0x2
	s_load_b96 s[20:22], s[0:1], 0x80
	s_load_b64 s[6:7], s[0:1], 0x20
	s_load_b64 s[24:25], s[0:1], 0x60
	s_wait_kmcnt 0x0
	s_bitcmp1_b32 s22, 0
	s_cselect_b32 s2, -1, 0
	s_delay_alu instid0(SALU_CYCLE_1)
	s_and_b32 vcc_lo, exec_lo, s2
	s_xor_b32 s2, s2, -1
	s_cbranch_vccnz .LBB76_2
; %bb.1:
	s_load_b32 s6, s[6:7], 0x0
.LBB76_2:
	s_and_not1_b32 vcc_lo, exec_lo, s2
	s_cbranch_vccnz .LBB76_4
; %bb.3:
	s_load_b32 s24, s[24:25], 0x0
.LBB76_4:
	s_wait_kmcnt 0x0
	s_cmp_eq_f32 s6, 0
	s_cselect_b32 s2, -1, 0
	s_cmp_eq_f32 s24, 1.0
	s_cselect_b32 s3, -1, 0
	s_delay_alu instid0(SALU_CYCLE_1) | instskip(NEXT) | instid1(SALU_CYCLE_1)
	s_and_b32 s2, s2, s3
	s_and_b32 vcc_lo, exec_lo, s2
	s_cbranch_vccnz .LBB76_48
; %bb.5:
	s_clause 0x1
	s_load_b128 s[8:11], s[0:1], 0x0
	s_load_b64 s[2:3], s[0:1], 0x28
	s_bfe_u32 s4, ttmp6, 0x4000c
	s_and_b32 s5, ttmp6, 15
	s_add_co_i32 s4, s4, 1
	s_mov_b64 s[26:27], 0
	s_mul_i32 s7, ttmp9, s4
	s_getreg_b32 s4, hwreg(HW_REG_IB_STS2, 6, 4)
	s_add_co_i32 s5, s5, s7
	s_cmp_eq_u32 s4, 0
	s_mov_b64 s[28:29], 0
	s_cselect_b32 s22, ttmp9, s5
	s_wait_kmcnt 0x0
	s_cmp_lt_i32 s22, s10
	s_cselect_b32 s7, -1, 0
	s_cmp_ge_i32 s22, s10
	s_cbranch_scc1 .LBB76_7
; %bb.6:
	s_ashr_i32 s23, s22, 31
	s_mov_b32 s15, 0
	s_lshl_b64 s[12:13], s[22:23], 3
	s_mov_b32 s14, s21
	s_add_nc_u64 s[12:13], s[2:3], s[12:13]
	s_load_b64 s[12:13], s[12:13], 0x0
	s_wait_kmcnt 0x0
	s_sub_nc_u64 s[28:29], s[12:13], s[14:15]
.LBB76_7:
	s_and_not1_b32 vcc_lo, exec_lo, s7
	s_cbranch_vccnz .LBB76_9
; %bb.8:
	s_ashr_i32 s23, s22, 31
	s_delay_alu instid0(SALU_CYCLE_1) | instskip(NEXT) | instid1(SALU_CYCLE_1)
	s_lshl_b64 s[12:13], s[22:23], 3
	s_add_nc_u64 s[2:3], s[2:3], s[12:13]
	s_mov_b32 s13, 0
	s_load_b64 s[2:3], s[2:3], 0x8
	s_mov_b32 s12, s21
	s_wait_kmcnt 0x0
	s_sub_nc_u64 s[26:27], s[2:3], s[12:13]
.LBB76_9:
	s_bfe_u32 s2, ttmp6, 0x40010
	s_load_b32 s10, s[0:1], 0x40
	s_add_co_i32 s2, s2, 1
	s_bfe_u32 s3, ttmp6, 0x40004
	s_mul_i32 s2, ttmp7, s2
	v_bfe_u32 v4, v0, 10, 10
	s_add_co_i32 s3, s3, s2
	s_cmp_eq_u32 s4, 0
	v_and_b32_e32 v6, 0x3ff, v0
	s_cselect_b32 s2, ttmp7, s3
	s_delay_alu instid0(SALU_CYCLE_1) | instskip(SKIP_1) | instid1(VALU_DEP_2)
	v_lshl_add_u32 v2, s2, 4, v4
	v_cmp_ge_i64_e64 s2, s[28:29], s[26:27]
	v_add_nc_u32_e32 v0, 8, v2
	v_cmp_gt_i32_e64 s3, s11, v2
	s_and_b32 vcc_lo, exec_lo, s2
	s_wait_kmcnt 0x0
	v_cmp_gt_i32_e64 s2, s10, v6
	v_cmp_gt_i32_e64 s4, s11, v0
	s_cbranch_vccnz .LBB76_27
; %bb.10:
	s_clause 0x1
	s_load_b128 s[12:15], s[0:1], 0x30
	s_load_b128 s[16:19], s[0:1], 0x48
	v_mul_lo_u32 v12, s10, v4
	v_dual_mov_b32 v13, 0 :: v_dual_ashrrev_i32 v3, 31, v2
	v_dual_ashrrev_i32 v1, 31, v0 :: v_dual_lshlrev_b32 v20, 2, v6
	v_cmp_gt_i32_e32 vcc_lo, s10, v4
	s_delay_alu instid0(VALU_DEP_3) | instskip(SKIP_2) | instid1(VALU_DEP_1)
	v_dual_mov_b32 v7, v13 :: v_dual_mov_b32 v5, v13
	v_lshl_add_u32 v21, v4, 2, 0x200
	v_dual_lshlrev_b32 v18, 5, v4 :: v_dual_lshlrev_b32 v22, 5, v6
	v_add_nc_u32_e32 v19, 0x100, v18
	s_delay_alu instid0(VALU_DEP_2)
	v_add_nc_u32_e32 v21, v21, v22
	v_add_nc_u32_e32 v20, v20, v18
	s_wait_kmcnt 0x0
	v_add_nc_u64_e32 v[14:15], s[14:15], v[12:13]
	v_mul_lo_u32 v12, s10, v6
	v_mul_u64_e32 v[8:9], s[18:19], v[2:3]
	v_mul_u64_e32 v[10:11], s[18:19], v[0:1]
	s_delay_alu instid0(VALU_DEP_3)
	v_add_nc_u64_e32 v[16:17], s[14:15], v[12:13]
	s_and_b32 s14, s2, vcc_lo
	v_add_nc_u64_e32 v[12:13], v[14:15], v[6:7]
	s_bitcmp1_b32 s8, 0
	s_mul_i32 s8, s10, s10
	s_cselect_b32 s5, -1, 0
	s_cmp_eq_u32 s9, 0
	v_add_nc_u64_e32 v[4:5], v[16:17], v[4:5]
	s_cselect_b32 vcc_lo, -1, 0
	s_delay_alu instid0(VALU_DEP_1) | instskip(NEXT) | instid1(VALU_DEP_2)
	v_dual_cndmask_b32 v12, v12, v4 :: v_dual_add_nc_u32 v7, 0x200, v22
	v_cndmask_b32_e32 v13, v13, v5, vcc_lo
	v_mov_b64_e32 v[4:5], 0
	s_branch .LBB76_13
.LBB76_11:                              ;   in Loop: Header=BB76_13 Depth=1
	s_or_b32 exec_lo, exec_lo, s15
.LBB76_12:                              ;   in Loop: Header=BB76_13 Depth=1
	s_delay_alu instid0(SALU_CYCLE_1) | instskip(SKIP_1) | instid1(SALU_CYCLE_1)
	s_or_b32 exec_lo, exec_lo, s9
	s_add_nc_u64 s[28:29], s[28:29], 1
	v_cmp_ge_i64_e64 s9, s[28:29], s[26:27]
	s_barrier_signal -1
	s_barrier_wait -1
	s_and_b32 vcc_lo, exec_lo, s9
	s_cbranch_vccnz .LBB76_28
.LBB76_13:                              ; =>This Loop Header: Depth=1
                                        ;     Child Loop BB76_23 Depth 2
                                        ;     Child Loop BB76_26 Depth 2
	s_and_saveexec_b32 s9, s2
	s_cbranch_execz .LBB76_18
; %bb.14:                               ;   in Loop: Header=BB76_13 Depth=1
	s_lshl_b64 s[30:31], s[28:29], 2
	s_delay_alu instid0(SALU_CYCLE_1) | instskip(SKIP_3) | instid1(SALU_CYCLE_1)
	s_add_nc_u64 s[30:31], s[12:13], s[30:31]
	s_load_b32 s15, s[30:31], 0x0
	s_wait_kmcnt 0x0
	s_sub_co_i32 s15, s15, s21
	v_mad_u32 v16, s15, s10, v6
	s_delay_alu instid0(VALU_DEP_1) | instskip(SKIP_1) | instid1(VALU_DEP_2)
	v_mad_nc_u64_u32 v[14:15], s18, v16, s[16:17]
	v_ashrrev_i32_e32 v17, 31, v16
	v_mad_u32 v15, s19, v16, v15
	s_delay_alu instid0(VALU_DEP_1)
	v_mad_u32 v15, s18, v17, v15
	v_add_nc_u64_e32 v[16:17], s[16:17], v[16:17]
	s_and_saveexec_b32 s15, s3
	s_cbranch_execz .LBB76_16
; %bb.15:                               ;   in Loop: Header=BB76_13 Depth=1
	s_delay_alu instid0(VALU_DEP_2) | instskip(NEXT) | instid1(VALU_DEP_2)
	v_add_nc_u64_e32 v[22:23], v[14:15], v[2:3]
	v_add_nc_u64_e32 v[24:25], v[16:17], v[8:9]
	s_delay_alu instid0(VALU_DEP_1)
	v_dual_cndmask_b32 v23, v23, v25, s5 :: v_dual_cndmask_b32 v22, v22, v24, s5
	global_load_i8 v22, v[22:23], off
	s_wait_loadcnt 0x0
	v_cvt_f32_i32_e32 v22, v22
	ds_store_b32 v20, v22
.LBB76_16:                              ;   in Loop: Header=BB76_13 Depth=1
	s_or_b32 exec_lo, exec_lo, s15
	s_delay_alu instid0(SALU_CYCLE_1)
	s_and_b32 exec_lo, exec_lo, s4
	s_cbranch_execz .LBB76_18
; %bb.17:                               ;   in Loop: Header=BB76_13 Depth=1
	s_delay_alu instid0(VALU_DEP_1) | instskip(NEXT) | instid1(VALU_DEP_3)
	v_add_nc_u64_e32 v[16:17], v[16:17], v[10:11]
	v_add_nc_u64_e32 v[14:15], v[14:15], v[0:1]
	s_delay_alu instid0(VALU_DEP_1)
	v_dual_cndmask_b32 v15, v15, v17, s5 :: v_dual_cndmask_b32 v14, v14, v16, s5
	global_load_i8 v14, v[14:15], off
	s_wait_loadcnt 0x0
	v_cvt_f32_i32_e32 v14, v14
	ds_store_b32 v20, v14 offset:256
.LBB76_18:                              ;   in Loop: Header=BB76_13 Depth=1
	s_or_b32 exec_lo, exec_lo, s9
	s_and_saveexec_b32 s9, s14
	s_cbranch_execz .LBB76_20
; %bb.19:                               ;   in Loop: Header=BB76_13 Depth=1
	v_mad_nc_u64_u32 v[14:15], s28, s8, v[12:13]
	s_delay_alu instid0(VALU_DEP_1)
	v_mad_u32 v15, s29, s8, v15
	global_load_i8 v14, v[14:15], off
	s_wait_loadcnt 0x0
	v_cvt_f32_i32_e32 v14, v14
	ds_store_b32 v21, v14
.LBB76_20:                              ;   in Loop: Header=BB76_13 Depth=1
	s_or_b32 exec_lo, exec_lo, s9
	s_wait_dscnt 0x0
	s_barrier_signal -1
	s_barrier_wait -1
	s_and_saveexec_b32 s9, s2
	s_cbranch_execz .LBB76_12
; %bb.21:                               ;   in Loop: Header=BB76_13 Depth=1
	s_and_saveexec_b32 s15, s3
	s_cbranch_execz .LBB76_24
; %bb.22:                               ;   in Loop: Header=BB76_13 Depth=1
	v_dual_mov_b32 v14, v7 :: v_dual_mov_b32 v15, v18
	s_mov_b32 s23, s10
.LBB76_23:                              ;   Parent Loop BB76_13 Depth=1
                                        ; =>  This Inner Loop Header: Depth=2
	ds_load_b32 v16, v14
	ds_load_b32 v17, v15
	v_dual_add_nc_u32 v15, 4, v15 :: v_dual_add_nc_u32 v14, 4, v14
	s_add_co_i32 s23, s23, -1
	s_delay_alu instid0(SALU_CYCLE_1)
	s_cmp_lg_u32 s23, 0
	s_wait_dscnt 0x0
	v_fma_f32 v4, v16, v17, v4
	s_cbranch_scc1 .LBB76_23
.LBB76_24:                              ;   in Loop: Header=BB76_13 Depth=1
	s_or_b32 exec_lo, exec_lo, s15
	s_and_saveexec_b32 s15, s4
	s_cbranch_execz .LBB76_11
; %bb.25:                               ;   in Loop: Header=BB76_13 Depth=1
	v_dual_mov_b32 v14, v7 :: v_dual_mov_b32 v15, v19
	s_mov_b32 s23, s10
.LBB76_26:                              ;   Parent Loop BB76_13 Depth=1
                                        ; =>  This Inner Loop Header: Depth=2
	ds_load_b32 v16, v14
	ds_load_b32 v17, v15
	v_dual_add_nc_u32 v15, 4, v15 :: v_dual_add_nc_u32 v14, 4, v14
	s_add_co_i32 s23, s23, -1
	s_delay_alu instid0(SALU_CYCLE_1)
	s_cmp_lg_u32 s23, 0
	s_wait_dscnt 0x0
	v_fma_f32 v5, v16, v17, v5
	s_cbranch_scc1 .LBB76_26
	s_branch .LBB76_11
.LBB76_27:
	v_mov_b64_e32 v[4:5], 0
.LBB76_28:
	s_load_b64 s[4:5], s[0:1], 0x68
	s_and_b32 s2, s7, s2
	s_delay_alu instid0(SALU_CYCLE_1)
	s_and_saveexec_b32 s3, s2
	s_cbranch_execz .LBB76_48
; %bb.29:
	s_load_b64 s[2:3], s[0:1], 0x70
	v_mad_u32 v6, s10, s22, v6
	s_cmp_neq_f32 s24, 0
	s_wait_xcnt 0x0
	s_mov_b32 s0, exec_lo
	s_cselect_b32 s7, -1, 0
	s_cmp_lg_u32 s20, 1
	s_cselect_b32 s1, -1, 0
	s_delay_alu instid0(VALU_DEP_1) | instskip(SKIP_1) | instid1(VALU_DEP_1)
	v_ashrrev_i32_e32 v7, 31, v6
	s_wait_kmcnt 0x0
	v_mul_u64_e32 v[8:9], s[2:3], v[6:7]
	v_lshl_add_u64 v[6:7], v[6:7], 2, s[4:5]
	s_delay_alu instid0(VALU_DEP_2)
	v_lshl_add_u64 v[8:9], v[8:9], 2, s[4:5]
	v_cmpx_gt_i32_e64 s11, v2
	s_cbranch_execz .LBB76_41
; %bb.30:
	v_ashrrev_i32_e32 v3, 31, v2
	s_and_b32 vcc_lo, exec_lo, s7
	s_cbranch_vccz .LBB76_36
; %bb.31:
	s_and_b32 vcc_lo, exec_lo, s1
	s_mov_b32 s4, -1
	s_cbranch_vccz .LBB76_33
; %bb.32:
	v_lshl_add_u64 v[10:11], v[2:3], 2, v[8:9]
	v_mul_f32_e32 v12, s6, v4
	s_mov_b32 s4, 0
	global_load_b32 v1, v[10:11], off
	s_wait_loadcnt 0x0
	v_fmac_f32_e32 v12, s24, v1
	global_store_b32 v[10:11], v12, off
.LBB76_33:
	s_and_not1_b32 vcc_lo, exec_lo, s4
	s_cbranch_vccnz .LBB76_35
; %bb.34:
	s_wait_xcnt 0x0
	v_mul_u64_e32 v[10:11], s[2:3], v[2:3]
	v_mul_f32_e32 v12, s6, v4
	s_delay_alu instid0(VALU_DEP_2)
	v_lshl_add_u64 v[10:11], v[10:11], 2, v[6:7]
	global_load_b32 v1, v[10:11], off
	s_wait_loadcnt 0x0
	v_fmac_f32_e32 v12, s24, v1
	global_store_b32 v[10:11], v12, off
.LBB76_35:
	s_cbranch_execz .LBB76_37
	s_branch .LBB76_41
.LBB76_36:
.LBB76_37:
	v_mul_f32_e32 v1, s6, v4
	s_and_b32 vcc_lo, exec_lo, s1
	s_mov_b32 s4, -1
	s_cbranch_vccz .LBB76_39
; %bb.38:
	s_wait_xcnt 0x0
	v_lshl_add_u64 v[10:11], v[2:3], 2, v[8:9]
	s_mov_b32 s4, 0
	global_store_b32 v[10:11], v1, off
.LBB76_39:
	s_and_not1_b32 vcc_lo, exec_lo, s4
	s_cbranch_vccnz .LBB76_41
; %bb.40:
	v_mul_u64_e32 v[2:3], s[2:3], v[2:3]
	s_delay_alu instid0(VALU_DEP_1)
	v_lshl_add_u64 v[2:3], v[2:3], 2, v[6:7]
	global_store_b32 v[2:3], v1, off
.LBB76_41:
	s_wait_xcnt 0x0
	s_or_b32 exec_lo, exec_lo, s0
	v_cmp_gt_i32_e32 vcc_lo, s11, v0
	s_and_b32 exec_lo, exec_lo, vcc_lo
	s_cbranch_execz .LBB76_48
; %bb.42:
	v_cndmask_b32_e64 v2, 0, 1, s1
	v_ashrrev_i32_e32 v1, 31, v0
	s_and_not1_b32 vcc_lo, exec_lo, s7
	s_delay_alu instid0(VALU_DEP_2)
	v_cmp_ne_u32_e64 s0, 1, v2
	s_cbranch_vccnz .LBB76_49
; %bb.43:
	s_and_b32 vcc_lo, exec_lo, s0
	s_mov_b32 s0, -1
	s_cbranch_vccnz .LBB76_45
; %bb.44:
	v_lshl_add_u64 v[2:3], v[0:1], 2, v[8:9]
	v_mul_f32_e32 v10, s6, v5
	s_mov_b32 s0, 0
	global_load_b32 v4, v[2:3], off
	s_wait_loadcnt 0x0
	v_fmac_f32_e32 v10, s24, v4
	global_store_b32 v[2:3], v10, off
.LBB76_45:
	s_and_not1_b32 vcc_lo, exec_lo, s0
	s_cbranch_vccnz .LBB76_47
; %bb.46:
	s_wait_xcnt 0x0
	v_mul_u64_e32 v[2:3], s[2:3], v[0:1]
	v_mul_f32_e32 v10, s6, v5
	s_delay_alu instid0(VALU_DEP_2)
	v_lshl_add_u64 v[2:3], v[2:3], 2, v[6:7]
	global_load_b32 v4, v[2:3], off
	s_wait_loadcnt 0x0
	v_fmac_f32_e32 v10, s24, v4
	global_store_b32 v[2:3], v10, off
.LBB76_47:
	s_cbranch_execz .LBB76_50
.LBB76_48:
	s_endpgm
.LBB76_49:
.LBB76_50:
	s_wait_xcnt 0x0
	v_mul_f32_e32 v2, s6, v5
	s_and_not1_b32 vcc_lo, exec_lo, s1
	s_mov_b32 s0, -1
	s_cbranch_vccnz .LBB76_52
; %bb.51:
	v_lshl_add_u64 v[4:5], v[0:1], 2, v[8:9]
	s_mov_b32 s0, 0
	global_store_b32 v[4:5], v2, off
.LBB76_52:
	s_and_not1_b32 vcc_lo, exec_lo, s0
	s_cbranch_vccnz .LBB76_48
; %bb.53:
	v_mul_u64_e32 v[0:1], s[2:3], v[0:1]
	s_delay_alu instid0(VALU_DEP_1)
	v_lshl_add_u64 v[0:1], v[0:1], 2, v[6:7]
	global_store_b32 v[0:1], v2, off
	s_endpgm
	.section	.rodata,"a",@progbits
	.p2align	6, 0x0
	.amdhsa_kernel _ZN9rocsparseL31bsrmm_large_blockdim_kernel_extILj8ELj8ELj2EliaaffEEvb20rocsparse_direction_T3_S2_llNS_24const_host_device_scalarIT7_EEPKT2_PKS2_PKT4_S2_PKT5_llS5_PT6_ll16rocsparse_order_21rocsparse_index_base_b
		.amdhsa_group_segment_fixed_size 768
		.amdhsa_private_segment_fixed_size 0
		.amdhsa_kernarg_size 140
		.amdhsa_user_sgpr_count 2
		.amdhsa_user_sgpr_dispatch_ptr 0
		.amdhsa_user_sgpr_queue_ptr 0
		.amdhsa_user_sgpr_kernarg_segment_ptr 1
		.amdhsa_user_sgpr_dispatch_id 0
		.amdhsa_user_sgpr_kernarg_preload_length 0
		.amdhsa_user_sgpr_kernarg_preload_offset 0
		.amdhsa_user_sgpr_private_segment_size 0
		.amdhsa_wavefront_size32 1
		.amdhsa_uses_dynamic_stack 0
		.amdhsa_enable_private_segment 0
		.amdhsa_system_sgpr_workgroup_id_x 1
		.amdhsa_system_sgpr_workgroup_id_y 1
		.amdhsa_system_sgpr_workgroup_id_z 0
		.amdhsa_system_sgpr_workgroup_info 0
		.amdhsa_system_vgpr_workitem_id 1
		.amdhsa_next_free_vgpr 26
		.amdhsa_next_free_sgpr 32
		.amdhsa_named_barrier_count 0
		.amdhsa_reserve_vcc 1
		.amdhsa_float_round_mode_32 0
		.amdhsa_float_round_mode_16_64 0
		.amdhsa_float_denorm_mode_32 3
		.amdhsa_float_denorm_mode_16_64 3
		.amdhsa_fp16_overflow 0
		.amdhsa_memory_ordered 1
		.amdhsa_forward_progress 1
		.amdhsa_inst_pref_size 14
		.amdhsa_round_robin_scheduling 0
		.amdhsa_exception_fp_ieee_invalid_op 0
		.amdhsa_exception_fp_denorm_src 0
		.amdhsa_exception_fp_ieee_div_zero 0
		.amdhsa_exception_fp_ieee_overflow 0
		.amdhsa_exception_fp_ieee_underflow 0
		.amdhsa_exception_fp_ieee_inexact 0
		.amdhsa_exception_int_div_zero 0
	.end_amdhsa_kernel
	.section	.text._ZN9rocsparseL31bsrmm_large_blockdim_kernel_extILj8ELj8ELj2EliaaffEEvb20rocsparse_direction_T3_S2_llNS_24const_host_device_scalarIT7_EEPKT2_PKS2_PKT4_S2_PKT5_llS5_PT6_ll16rocsparse_order_21rocsparse_index_base_b,"axG",@progbits,_ZN9rocsparseL31bsrmm_large_blockdim_kernel_extILj8ELj8ELj2EliaaffEEvb20rocsparse_direction_T3_S2_llNS_24const_host_device_scalarIT7_EEPKT2_PKS2_PKT4_S2_PKT5_llS5_PT6_ll16rocsparse_order_21rocsparse_index_base_b,comdat
.Lfunc_end76:
	.size	_ZN9rocsparseL31bsrmm_large_blockdim_kernel_extILj8ELj8ELj2EliaaffEEvb20rocsparse_direction_T3_S2_llNS_24const_host_device_scalarIT7_EEPKT2_PKS2_PKT4_S2_PKT5_llS5_PT6_ll16rocsparse_order_21rocsparse_index_base_b, .Lfunc_end76-_ZN9rocsparseL31bsrmm_large_blockdim_kernel_extILj8ELj8ELj2EliaaffEEvb20rocsparse_direction_T3_S2_llNS_24const_host_device_scalarIT7_EEPKT2_PKS2_PKT4_S2_PKT5_llS5_PT6_ll16rocsparse_order_21rocsparse_index_base_b
                                        ; -- End function
	.set _ZN9rocsparseL31bsrmm_large_blockdim_kernel_extILj8ELj8ELj2EliaaffEEvb20rocsparse_direction_T3_S2_llNS_24const_host_device_scalarIT7_EEPKT2_PKS2_PKT4_S2_PKT5_llS5_PT6_ll16rocsparse_order_21rocsparse_index_base_b.num_vgpr, 26
	.set _ZN9rocsparseL31bsrmm_large_blockdim_kernel_extILj8ELj8ELj2EliaaffEEvb20rocsparse_direction_T3_S2_llNS_24const_host_device_scalarIT7_EEPKT2_PKS2_PKT4_S2_PKT5_llS5_PT6_ll16rocsparse_order_21rocsparse_index_base_b.num_agpr, 0
	.set _ZN9rocsparseL31bsrmm_large_blockdim_kernel_extILj8ELj8ELj2EliaaffEEvb20rocsparse_direction_T3_S2_llNS_24const_host_device_scalarIT7_EEPKT2_PKS2_PKT4_S2_PKT5_llS5_PT6_ll16rocsparse_order_21rocsparse_index_base_b.numbered_sgpr, 32
	.set _ZN9rocsparseL31bsrmm_large_blockdim_kernel_extILj8ELj8ELj2EliaaffEEvb20rocsparse_direction_T3_S2_llNS_24const_host_device_scalarIT7_EEPKT2_PKS2_PKT4_S2_PKT5_llS5_PT6_ll16rocsparse_order_21rocsparse_index_base_b.num_named_barrier, 0
	.set _ZN9rocsparseL31bsrmm_large_blockdim_kernel_extILj8ELj8ELj2EliaaffEEvb20rocsparse_direction_T3_S2_llNS_24const_host_device_scalarIT7_EEPKT2_PKS2_PKT4_S2_PKT5_llS5_PT6_ll16rocsparse_order_21rocsparse_index_base_b.private_seg_size, 0
	.set _ZN9rocsparseL31bsrmm_large_blockdim_kernel_extILj8ELj8ELj2EliaaffEEvb20rocsparse_direction_T3_S2_llNS_24const_host_device_scalarIT7_EEPKT2_PKS2_PKT4_S2_PKT5_llS5_PT6_ll16rocsparse_order_21rocsparse_index_base_b.uses_vcc, 1
	.set _ZN9rocsparseL31bsrmm_large_blockdim_kernel_extILj8ELj8ELj2EliaaffEEvb20rocsparse_direction_T3_S2_llNS_24const_host_device_scalarIT7_EEPKT2_PKS2_PKT4_S2_PKT5_llS5_PT6_ll16rocsparse_order_21rocsparse_index_base_b.uses_flat_scratch, 0
	.set _ZN9rocsparseL31bsrmm_large_blockdim_kernel_extILj8ELj8ELj2EliaaffEEvb20rocsparse_direction_T3_S2_llNS_24const_host_device_scalarIT7_EEPKT2_PKS2_PKT4_S2_PKT5_llS5_PT6_ll16rocsparse_order_21rocsparse_index_base_b.has_dyn_sized_stack, 0
	.set _ZN9rocsparseL31bsrmm_large_blockdim_kernel_extILj8ELj8ELj2EliaaffEEvb20rocsparse_direction_T3_S2_llNS_24const_host_device_scalarIT7_EEPKT2_PKS2_PKT4_S2_PKT5_llS5_PT6_ll16rocsparse_order_21rocsparse_index_base_b.has_recursion, 0
	.set _ZN9rocsparseL31bsrmm_large_blockdim_kernel_extILj8ELj8ELj2EliaaffEEvb20rocsparse_direction_T3_S2_llNS_24const_host_device_scalarIT7_EEPKT2_PKS2_PKT4_S2_PKT5_llS5_PT6_ll16rocsparse_order_21rocsparse_index_base_b.has_indirect_call, 0
	.section	.AMDGPU.csdata,"",@progbits
; Kernel info:
; codeLenInByte = 1724
; TotalNumSgprs: 34
; NumVgprs: 26
; ScratchSize: 0
; MemoryBound: 0
; FloatMode: 240
; IeeeMode: 1
; LDSByteSize: 768 bytes/workgroup (compile time only)
; SGPRBlocks: 0
; VGPRBlocks: 1
; NumSGPRsForWavesPerEU: 34
; NumVGPRsForWavesPerEU: 26
; NamedBarCnt: 0
; Occupancy: 16
; WaveLimiterHint : 1
; COMPUTE_PGM_RSRC2:SCRATCH_EN: 0
; COMPUTE_PGM_RSRC2:USER_SGPR: 2
; COMPUTE_PGM_RSRC2:TRAP_HANDLER: 0
; COMPUTE_PGM_RSRC2:TGID_X_EN: 1
; COMPUTE_PGM_RSRC2:TGID_Y_EN: 1
; COMPUTE_PGM_RSRC2:TGID_Z_EN: 0
; COMPUTE_PGM_RSRC2:TIDIG_COMP_CNT: 1
	.section	.text._ZN9rocsparseL31bsrmm_large_blockdim_kernel_extILj4ELj16ELj2EliaaffEEvb20rocsparse_direction_T3_S2_llNS_24const_host_device_scalarIT7_EEPKT2_PKS2_PKT4_S2_PKT5_llS5_PT6_ll16rocsparse_order_21rocsparse_index_base_b,"axG",@progbits,_ZN9rocsparseL31bsrmm_large_blockdim_kernel_extILj4ELj16ELj2EliaaffEEvb20rocsparse_direction_T3_S2_llNS_24const_host_device_scalarIT7_EEPKT2_PKS2_PKT4_S2_PKT5_llS5_PT6_ll16rocsparse_order_21rocsparse_index_base_b,comdat
	.globl	_ZN9rocsparseL31bsrmm_large_blockdim_kernel_extILj4ELj16ELj2EliaaffEEvb20rocsparse_direction_T3_S2_llNS_24const_host_device_scalarIT7_EEPKT2_PKS2_PKT4_S2_PKT5_llS5_PT6_ll16rocsparse_order_21rocsparse_index_base_b ; -- Begin function _ZN9rocsparseL31bsrmm_large_blockdim_kernel_extILj4ELj16ELj2EliaaffEEvb20rocsparse_direction_T3_S2_llNS_24const_host_device_scalarIT7_EEPKT2_PKS2_PKT4_S2_PKT5_llS5_PT6_ll16rocsparse_order_21rocsparse_index_base_b
	.p2align	8
	.type	_ZN9rocsparseL31bsrmm_large_blockdim_kernel_extILj4ELj16ELj2EliaaffEEvb20rocsparse_direction_T3_S2_llNS_24const_host_device_scalarIT7_EEPKT2_PKS2_PKT4_S2_PKT5_llS5_PT6_ll16rocsparse_order_21rocsparse_index_base_b,@function
_ZN9rocsparseL31bsrmm_large_blockdim_kernel_extILj4ELj16ELj2EliaaffEEvb20rocsparse_direction_T3_S2_llNS_24const_host_device_scalarIT7_EEPKT2_PKS2_PKT4_S2_PKT5_llS5_PT6_ll16rocsparse_order_21rocsparse_index_base_b: ; @_ZN9rocsparseL31bsrmm_large_blockdim_kernel_extILj4ELj16ELj2EliaaffEEvb20rocsparse_direction_T3_S2_llNS_24const_host_device_scalarIT7_EEPKT2_PKS2_PKT4_S2_PKT5_llS5_PT6_ll16rocsparse_order_21rocsparse_index_base_b
; %bb.0:
	s_clause 0x2
	s_load_b96 s[20:22], s[0:1], 0x80
	s_load_b64 s[6:7], s[0:1], 0x20
	s_load_b64 s[24:25], s[0:1], 0x60
	s_wait_kmcnt 0x0
	s_bitcmp1_b32 s22, 0
	s_cselect_b32 s2, -1, 0
	s_delay_alu instid0(SALU_CYCLE_1)
	s_and_b32 vcc_lo, exec_lo, s2
	s_xor_b32 s2, s2, -1
	s_cbranch_vccnz .LBB77_2
; %bb.1:
	s_load_b32 s6, s[6:7], 0x0
.LBB77_2:
	s_and_not1_b32 vcc_lo, exec_lo, s2
	s_cbranch_vccnz .LBB77_4
; %bb.3:
	s_load_b32 s24, s[24:25], 0x0
.LBB77_4:
	s_wait_kmcnt 0x0
	s_cmp_eq_f32 s6, 0
	s_cselect_b32 s2, -1, 0
	s_cmp_eq_f32 s24, 1.0
	s_cselect_b32 s3, -1, 0
	s_delay_alu instid0(SALU_CYCLE_1) | instskip(NEXT) | instid1(SALU_CYCLE_1)
	s_and_b32 s2, s2, s3
	s_and_b32 vcc_lo, exec_lo, s2
	s_cbranch_vccnz .LBB77_48
; %bb.5:
	s_clause 0x1
	s_load_b128 s[8:11], s[0:1], 0x0
	s_load_b64 s[2:3], s[0:1], 0x28
	s_bfe_u32 s4, ttmp6, 0x4000c
	s_and_b32 s5, ttmp6, 15
	s_add_co_i32 s4, s4, 1
	s_mov_b64 s[26:27], 0
	s_mul_i32 s7, ttmp9, s4
	s_getreg_b32 s4, hwreg(HW_REG_IB_STS2, 6, 4)
	s_add_co_i32 s5, s5, s7
	s_cmp_eq_u32 s4, 0
	s_mov_b64 s[28:29], 0
	s_cselect_b32 s22, ttmp9, s5
	s_wait_kmcnt 0x0
	s_cmp_lt_i32 s22, s10
	s_cselect_b32 s7, -1, 0
	s_cmp_ge_i32 s22, s10
	s_cbranch_scc1 .LBB77_7
; %bb.6:
	s_ashr_i32 s23, s22, 31
	s_mov_b32 s15, 0
	s_lshl_b64 s[12:13], s[22:23], 3
	s_mov_b32 s14, s21
	s_add_nc_u64 s[12:13], s[2:3], s[12:13]
	s_load_b64 s[12:13], s[12:13], 0x0
	s_wait_kmcnt 0x0
	s_sub_nc_u64 s[28:29], s[12:13], s[14:15]
.LBB77_7:
	s_and_not1_b32 vcc_lo, exec_lo, s7
	s_cbranch_vccnz .LBB77_9
; %bb.8:
	s_ashr_i32 s23, s22, 31
	s_delay_alu instid0(SALU_CYCLE_1) | instskip(NEXT) | instid1(SALU_CYCLE_1)
	s_lshl_b64 s[12:13], s[22:23], 3
	s_add_nc_u64 s[2:3], s[2:3], s[12:13]
	s_mov_b32 s13, 0
	s_load_b64 s[2:3], s[2:3], 0x8
	s_mov_b32 s12, s21
	s_wait_kmcnt 0x0
	s_sub_nc_u64 s[26:27], s[2:3], s[12:13]
.LBB77_9:
	s_bfe_u32 s2, ttmp6, 0x40010
	s_load_b32 s10, s[0:1], 0x40
	s_add_co_i32 s2, s2, 1
	s_bfe_u32 s3, ttmp6, 0x40004
	s_mul_i32 s2, ttmp7, s2
	v_bfe_u32 v4, v0, 10, 10
	s_add_co_i32 s3, s3, s2
	s_cmp_eq_u32 s4, 0
	v_and_b32_e32 v6, 0x3ff, v0
	s_cselect_b32 s2, ttmp7, s3
	s_delay_alu instid0(SALU_CYCLE_1) | instskip(SKIP_1) | instid1(VALU_DEP_2)
	v_lshl_add_u32 v2, s2, 5, v4
	v_cmp_ge_i64_e64 s2, s[28:29], s[26:27]
	v_add_nc_u32_e32 v0, 16, v2
	v_cmp_gt_i32_e64 s3, s11, v2
	s_and_b32 vcc_lo, exec_lo, s2
	s_wait_kmcnt 0x0
	v_cmp_gt_i32_e64 s2, s10, v6
	v_cmp_gt_i32_e64 s4, s11, v0
	s_cbranch_vccnz .LBB77_27
; %bb.10:
	s_clause 0x1
	s_load_b128 s[12:15], s[0:1], 0x30
	s_load_b128 s[16:19], s[0:1], 0x48
	v_mul_lo_u32 v12, s10, v4
	v_dual_mov_b32 v13, 0 :: v_dual_ashrrev_i32 v3, 31, v2
	v_dual_ashrrev_i32 v1, 31, v0 :: v_dual_lshlrev_b32 v20, 2, v6
	v_cmp_gt_i32_e32 vcc_lo, s10, v4
	s_delay_alu instid0(VALU_DEP_3) | instskip(SKIP_2) | instid1(VALU_DEP_1)
	v_dual_mov_b32 v7, v13 :: v_dual_mov_b32 v5, v13
	v_lshl_add_u32 v21, v4, 2, 0x200
	v_dual_lshlrev_b32 v18, 4, v4 :: v_dual_lshlrev_b32 v22, 4, v6
	v_add_nc_u32_e32 v19, 0x100, v18
	s_delay_alu instid0(VALU_DEP_2)
	v_add_nc_u32_e32 v21, v21, v22
	v_add_nc_u32_e32 v20, v20, v18
	s_wait_kmcnt 0x0
	v_add_nc_u64_e32 v[14:15], s[14:15], v[12:13]
	v_mul_lo_u32 v12, s10, v6
	v_mul_u64_e32 v[8:9], s[18:19], v[2:3]
	v_mul_u64_e32 v[10:11], s[18:19], v[0:1]
	s_delay_alu instid0(VALU_DEP_3)
	v_add_nc_u64_e32 v[16:17], s[14:15], v[12:13]
	s_and_b32 s14, s2, vcc_lo
	v_add_nc_u64_e32 v[12:13], v[14:15], v[6:7]
	s_bitcmp1_b32 s8, 0
	s_mul_i32 s8, s10, s10
	s_cselect_b32 s5, -1, 0
	s_cmp_eq_u32 s9, 0
	v_add_nc_u64_e32 v[4:5], v[16:17], v[4:5]
	s_cselect_b32 vcc_lo, -1, 0
	s_delay_alu instid0(VALU_DEP_1) | instskip(NEXT) | instid1(VALU_DEP_2)
	v_dual_cndmask_b32 v12, v12, v4 :: v_dual_add_nc_u32 v7, 0x200, v22
	v_cndmask_b32_e32 v13, v13, v5, vcc_lo
	v_mov_b64_e32 v[4:5], 0
	s_branch .LBB77_13
.LBB77_11:                              ;   in Loop: Header=BB77_13 Depth=1
	s_or_b32 exec_lo, exec_lo, s15
.LBB77_12:                              ;   in Loop: Header=BB77_13 Depth=1
	s_delay_alu instid0(SALU_CYCLE_1) | instskip(SKIP_1) | instid1(SALU_CYCLE_1)
	s_or_b32 exec_lo, exec_lo, s9
	s_add_nc_u64 s[28:29], s[28:29], 1
	v_cmp_ge_i64_e64 s9, s[28:29], s[26:27]
	s_barrier_signal -1
	s_barrier_wait -1
	s_and_b32 vcc_lo, exec_lo, s9
	s_cbranch_vccnz .LBB77_28
.LBB77_13:                              ; =>This Loop Header: Depth=1
                                        ;     Child Loop BB77_23 Depth 2
                                        ;     Child Loop BB77_26 Depth 2
	s_and_saveexec_b32 s9, s2
	s_cbranch_execz .LBB77_18
; %bb.14:                               ;   in Loop: Header=BB77_13 Depth=1
	s_lshl_b64 s[30:31], s[28:29], 2
	s_delay_alu instid0(SALU_CYCLE_1) | instskip(SKIP_3) | instid1(SALU_CYCLE_1)
	s_add_nc_u64 s[30:31], s[12:13], s[30:31]
	s_load_b32 s15, s[30:31], 0x0
	s_wait_kmcnt 0x0
	s_sub_co_i32 s15, s15, s21
	v_mad_u32 v16, s15, s10, v6
	s_delay_alu instid0(VALU_DEP_1) | instskip(SKIP_1) | instid1(VALU_DEP_2)
	v_mad_nc_u64_u32 v[14:15], s18, v16, s[16:17]
	v_ashrrev_i32_e32 v17, 31, v16
	v_mad_u32 v15, s19, v16, v15
	s_delay_alu instid0(VALU_DEP_1)
	v_mad_u32 v15, s18, v17, v15
	v_add_nc_u64_e32 v[16:17], s[16:17], v[16:17]
	s_and_saveexec_b32 s15, s3
	s_cbranch_execz .LBB77_16
; %bb.15:                               ;   in Loop: Header=BB77_13 Depth=1
	s_delay_alu instid0(VALU_DEP_2) | instskip(NEXT) | instid1(VALU_DEP_2)
	v_add_nc_u64_e32 v[22:23], v[14:15], v[2:3]
	v_add_nc_u64_e32 v[24:25], v[16:17], v[8:9]
	s_delay_alu instid0(VALU_DEP_1)
	v_dual_cndmask_b32 v23, v23, v25, s5 :: v_dual_cndmask_b32 v22, v22, v24, s5
	global_load_i8 v22, v[22:23], off
	s_wait_loadcnt 0x0
	v_cvt_f32_i32_e32 v22, v22
	ds_store_b32 v20, v22
.LBB77_16:                              ;   in Loop: Header=BB77_13 Depth=1
	s_or_b32 exec_lo, exec_lo, s15
	s_delay_alu instid0(SALU_CYCLE_1)
	s_and_b32 exec_lo, exec_lo, s4
	s_cbranch_execz .LBB77_18
; %bb.17:                               ;   in Loop: Header=BB77_13 Depth=1
	s_delay_alu instid0(VALU_DEP_1) | instskip(NEXT) | instid1(VALU_DEP_3)
	v_add_nc_u64_e32 v[16:17], v[16:17], v[10:11]
	v_add_nc_u64_e32 v[14:15], v[14:15], v[0:1]
	s_delay_alu instid0(VALU_DEP_1)
	v_dual_cndmask_b32 v15, v15, v17, s5 :: v_dual_cndmask_b32 v14, v14, v16, s5
	global_load_i8 v14, v[14:15], off
	s_wait_loadcnt 0x0
	v_cvt_f32_i32_e32 v14, v14
	ds_store_b32 v20, v14 offset:256
.LBB77_18:                              ;   in Loop: Header=BB77_13 Depth=1
	s_or_b32 exec_lo, exec_lo, s9
	s_and_saveexec_b32 s9, s14
	s_cbranch_execz .LBB77_20
; %bb.19:                               ;   in Loop: Header=BB77_13 Depth=1
	v_mad_nc_u64_u32 v[14:15], s28, s8, v[12:13]
	s_delay_alu instid0(VALU_DEP_1)
	v_mad_u32 v15, s29, s8, v15
	global_load_i8 v14, v[14:15], off
	s_wait_loadcnt 0x0
	v_cvt_f32_i32_e32 v14, v14
	ds_store_b32 v21, v14
.LBB77_20:                              ;   in Loop: Header=BB77_13 Depth=1
	s_or_b32 exec_lo, exec_lo, s9
	s_wait_dscnt 0x0
	s_barrier_signal -1
	s_barrier_wait -1
	s_and_saveexec_b32 s9, s2
	s_cbranch_execz .LBB77_12
; %bb.21:                               ;   in Loop: Header=BB77_13 Depth=1
	s_and_saveexec_b32 s15, s3
	s_cbranch_execz .LBB77_24
; %bb.22:                               ;   in Loop: Header=BB77_13 Depth=1
	v_dual_mov_b32 v14, v7 :: v_dual_mov_b32 v15, v18
	s_mov_b32 s23, s10
.LBB77_23:                              ;   Parent Loop BB77_13 Depth=1
                                        ; =>  This Inner Loop Header: Depth=2
	ds_load_b32 v16, v14
	ds_load_b32 v17, v15
	v_dual_add_nc_u32 v15, 4, v15 :: v_dual_add_nc_u32 v14, 4, v14
	s_add_co_i32 s23, s23, -1
	s_delay_alu instid0(SALU_CYCLE_1)
	s_cmp_lg_u32 s23, 0
	s_wait_dscnt 0x0
	v_fma_f32 v4, v16, v17, v4
	s_cbranch_scc1 .LBB77_23
.LBB77_24:                              ;   in Loop: Header=BB77_13 Depth=1
	s_or_b32 exec_lo, exec_lo, s15
	s_and_saveexec_b32 s15, s4
	s_cbranch_execz .LBB77_11
; %bb.25:                               ;   in Loop: Header=BB77_13 Depth=1
	v_dual_mov_b32 v14, v7 :: v_dual_mov_b32 v15, v19
	s_mov_b32 s23, s10
.LBB77_26:                              ;   Parent Loop BB77_13 Depth=1
                                        ; =>  This Inner Loop Header: Depth=2
	ds_load_b32 v16, v14
	ds_load_b32 v17, v15
	v_dual_add_nc_u32 v15, 4, v15 :: v_dual_add_nc_u32 v14, 4, v14
	s_add_co_i32 s23, s23, -1
	s_delay_alu instid0(SALU_CYCLE_1)
	s_cmp_lg_u32 s23, 0
	s_wait_dscnt 0x0
	v_fma_f32 v5, v16, v17, v5
	s_cbranch_scc1 .LBB77_26
	s_branch .LBB77_11
.LBB77_27:
	v_mov_b64_e32 v[4:5], 0
.LBB77_28:
	s_load_b64 s[4:5], s[0:1], 0x68
	s_and_b32 s2, s7, s2
	s_delay_alu instid0(SALU_CYCLE_1)
	s_and_saveexec_b32 s3, s2
	s_cbranch_execz .LBB77_48
; %bb.29:
	s_load_b64 s[2:3], s[0:1], 0x70
	v_mad_u32 v6, s10, s22, v6
	s_cmp_neq_f32 s24, 0
	s_wait_xcnt 0x0
	s_mov_b32 s0, exec_lo
	s_cselect_b32 s7, -1, 0
	s_cmp_lg_u32 s20, 1
	s_cselect_b32 s1, -1, 0
	s_delay_alu instid0(VALU_DEP_1) | instskip(SKIP_1) | instid1(VALU_DEP_1)
	v_ashrrev_i32_e32 v7, 31, v6
	s_wait_kmcnt 0x0
	v_mul_u64_e32 v[8:9], s[2:3], v[6:7]
	v_lshl_add_u64 v[6:7], v[6:7], 2, s[4:5]
	s_delay_alu instid0(VALU_DEP_2)
	v_lshl_add_u64 v[8:9], v[8:9], 2, s[4:5]
	v_cmpx_gt_i32_e64 s11, v2
	s_cbranch_execz .LBB77_41
; %bb.30:
	v_ashrrev_i32_e32 v3, 31, v2
	s_and_b32 vcc_lo, exec_lo, s7
	s_cbranch_vccz .LBB77_36
; %bb.31:
	s_and_b32 vcc_lo, exec_lo, s1
	s_mov_b32 s4, -1
	s_cbranch_vccz .LBB77_33
; %bb.32:
	v_lshl_add_u64 v[10:11], v[2:3], 2, v[8:9]
	v_mul_f32_e32 v12, s6, v4
	s_mov_b32 s4, 0
	global_load_b32 v1, v[10:11], off
	s_wait_loadcnt 0x0
	v_fmac_f32_e32 v12, s24, v1
	global_store_b32 v[10:11], v12, off
.LBB77_33:
	s_and_not1_b32 vcc_lo, exec_lo, s4
	s_cbranch_vccnz .LBB77_35
; %bb.34:
	s_wait_xcnt 0x0
	v_mul_u64_e32 v[10:11], s[2:3], v[2:3]
	v_mul_f32_e32 v12, s6, v4
	s_delay_alu instid0(VALU_DEP_2)
	v_lshl_add_u64 v[10:11], v[10:11], 2, v[6:7]
	global_load_b32 v1, v[10:11], off
	s_wait_loadcnt 0x0
	v_fmac_f32_e32 v12, s24, v1
	global_store_b32 v[10:11], v12, off
.LBB77_35:
	s_cbranch_execz .LBB77_37
	s_branch .LBB77_41
.LBB77_36:
.LBB77_37:
	v_mul_f32_e32 v1, s6, v4
	s_and_b32 vcc_lo, exec_lo, s1
	s_mov_b32 s4, -1
	s_cbranch_vccz .LBB77_39
; %bb.38:
	s_wait_xcnt 0x0
	v_lshl_add_u64 v[10:11], v[2:3], 2, v[8:9]
	s_mov_b32 s4, 0
	global_store_b32 v[10:11], v1, off
.LBB77_39:
	s_and_not1_b32 vcc_lo, exec_lo, s4
	s_cbranch_vccnz .LBB77_41
; %bb.40:
	v_mul_u64_e32 v[2:3], s[2:3], v[2:3]
	s_delay_alu instid0(VALU_DEP_1)
	v_lshl_add_u64 v[2:3], v[2:3], 2, v[6:7]
	global_store_b32 v[2:3], v1, off
.LBB77_41:
	s_wait_xcnt 0x0
	s_or_b32 exec_lo, exec_lo, s0
	v_cmp_gt_i32_e32 vcc_lo, s11, v0
	s_and_b32 exec_lo, exec_lo, vcc_lo
	s_cbranch_execz .LBB77_48
; %bb.42:
	v_cndmask_b32_e64 v2, 0, 1, s1
	v_ashrrev_i32_e32 v1, 31, v0
	s_and_not1_b32 vcc_lo, exec_lo, s7
	s_delay_alu instid0(VALU_DEP_2)
	v_cmp_ne_u32_e64 s0, 1, v2
	s_cbranch_vccnz .LBB77_49
; %bb.43:
	s_and_b32 vcc_lo, exec_lo, s0
	s_mov_b32 s0, -1
	s_cbranch_vccnz .LBB77_45
; %bb.44:
	v_lshl_add_u64 v[2:3], v[0:1], 2, v[8:9]
	v_mul_f32_e32 v10, s6, v5
	s_mov_b32 s0, 0
	global_load_b32 v4, v[2:3], off
	s_wait_loadcnt 0x0
	v_fmac_f32_e32 v10, s24, v4
	global_store_b32 v[2:3], v10, off
.LBB77_45:
	s_and_not1_b32 vcc_lo, exec_lo, s0
	s_cbranch_vccnz .LBB77_47
; %bb.46:
	s_wait_xcnt 0x0
	v_mul_u64_e32 v[2:3], s[2:3], v[0:1]
	v_mul_f32_e32 v10, s6, v5
	s_delay_alu instid0(VALU_DEP_2)
	v_lshl_add_u64 v[2:3], v[2:3], 2, v[6:7]
	global_load_b32 v4, v[2:3], off
	s_wait_loadcnt 0x0
	v_fmac_f32_e32 v10, s24, v4
	global_store_b32 v[2:3], v10, off
.LBB77_47:
	s_cbranch_execz .LBB77_50
.LBB77_48:
	s_endpgm
.LBB77_49:
.LBB77_50:
	s_wait_xcnt 0x0
	v_mul_f32_e32 v2, s6, v5
	s_and_not1_b32 vcc_lo, exec_lo, s1
	s_mov_b32 s0, -1
	s_cbranch_vccnz .LBB77_52
; %bb.51:
	v_lshl_add_u64 v[4:5], v[0:1], 2, v[8:9]
	s_mov_b32 s0, 0
	global_store_b32 v[4:5], v2, off
.LBB77_52:
	s_and_not1_b32 vcc_lo, exec_lo, s0
	s_cbranch_vccnz .LBB77_48
; %bb.53:
	v_mul_u64_e32 v[0:1], s[2:3], v[0:1]
	s_delay_alu instid0(VALU_DEP_1)
	v_lshl_add_u64 v[0:1], v[0:1], 2, v[6:7]
	global_store_b32 v[0:1], v2, off
	s_endpgm
	.section	.rodata,"a",@progbits
	.p2align	6, 0x0
	.amdhsa_kernel _ZN9rocsparseL31bsrmm_large_blockdim_kernel_extILj4ELj16ELj2EliaaffEEvb20rocsparse_direction_T3_S2_llNS_24const_host_device_scalarIT7_EEPKT2_PKS2_PKT4_S2_PKT5_llS5_PT6_ll16rocsparse_order_21rocsparse_index_base_b
		.amdhsa_group_segment_fixed_size 576
		.amdhsa_private_segment_fixed_size 0
		.amdhsa_kernarg_size 140
		.amdhsa_user_sgpr_count 2
		.amdhsa_user_sgpr_dispatch_ptr 0
		.amdhsa_user_sgpr_queue_ptr 0
		.amdhsa_user_sgpr_kernarg_segment_ptr 1
		.amdhsa_user_sgpr_dispatch_id 0
		.amdhsa_user_sgpr_kernarg_preload_length 0
		.amdhsa_user_sgpr_kernarg_preload_offset 0
		.amdhsa_user_sgpr_private_segment_size 0
		.amdhsa_wavefront_size32 1
		.amdhsa_uses_dynamic_stack 0
		.amdhsa_enable_private_segment 0
		.amdhsa_system_sgpr_workgroup_id_x 1
		.amdhsa_system_sgpr_workgroup_id_y 1
		.amdhsa_system_sgpr_workgroup_id_z 0
		.amdhsa_system_sgpr_workgroup_info 0
		.amdhsa_system_vgpr_workitem_id 1
		.amdhsa_next_free_vgpr 26
		.amdhsa_next_free_sgpr 32
		.amdhsa_named_barrier_count 0
		.amdhsa_reserve_vcc 1
		.amdhsa_float_round_mode_32 0
		.amdhsa_float_round_mode_16_64 0
		.amdhsa_float_denorm_mode_32 3
		.amdhsa_float_denorm_mode_16_64 3
		.amdhsa_fp16_overflow 0
		.amdhsa_memory_ordered 1
		.amdhsa_forward_progress 1
		.amdhsa_inst_pref_size 14
		.amdhsa_round_robin_scheduling 0
		.amdhsa_exception_fp_ieee_invalid_op 0
		.amdhsa_exception_fp_denorm_src 0
		.amdhsa_exception_fp_ieee_div_zero 0
		.amdhsa_exception_fp_ieee_overflow 0
		.amdhsa_exception_fp_ieee_underflow 0
		.amdhsa_exception_fp_ieee_inexact 0
		.amdhsa_exception_int_div_zero 0
	.end_amdhsa_kernel
	.section	.text._ZN9rocsparseL31bsrmm_large_blockdim_kernel_extILj4ELj16ELj2EliaaffEEvb20rocsparse_direction_T3_S2_llNS_24const_host_device_scalarIT7_EEPKT2_PKS2_PKT4_S2_PKT5_llS5_PT6_ll16rocsparse_order_21rocsparse_index_base_b,"axG",@progbits,_ZN9rocsparseL31bsrmm_large_blockdim_kernel_extILj4ELj16ELj2EliaaffEEvb20rocsparse_direction_T3_S2_llNS_24const_host_device_scalarIT7_EEPKT2_PKS2_PKT4_S2_PKT5_llS5_PT6_ll16rocsparse_order_21rocsparse_index_base_b,comdat
.Lfunc_end77:
	.size	_ZN9rocsparseL31bsrmm_large_blockdim_kernel_extILj4ELj16ELj2EliaaffEEvb20rocsparse_direction_T3_S2_llNS_24const_host_device_scalarIT7_EEPKT2_PKS2_PKT4_S2_PKT5_llS5_PT6_ll16rocsparse_order_21rocsparse_index_base_b, .Lfunc_end77-_ZN9rocsparseL31bsrmm_large_blockdim_kernel_extILj4ELj16ELj2EliaaffEEvb20rocsparse_direction_T3_S2_llNS_24const_host_device_scalarIT7_EEPKT2_PKS2_PKT4_S2_PKT5_llS5_PT6_ll16rocsparse_order_21rocsparse_index_base_b
                                        ; -- End function
	.set _ZN9rocsparseL31bsrmm_large_blockdim_kernel_extILj4ELj16ELj2EliaaffEEvb20rocsparse_direction_T3_S2_llNS_24const_host_device_scalarIT7_EEPKT2_PKS2_PKT4_S2_PKT5_llS5_PT6_ll16rocsparse_order_21rocsparse_index_base_b.num_vgpr, 26
	.set _ZN9rocsparseL31bsrmm_large_blockdim_kernel_extILj4ELj16ELj2EliaaffEEvb20rocsparse_direction_T3_S2_llNS_24const_host_device_scalarIT7_EEPKT2_PKS2_PKT4_S2_PKT5_llS5_PT6_ll16rocsparse_order_21rocsparse_index_base_b.num_agpr, 0
	.set _ZN9rocsparseL31bsrmm_large_blockdim_kernel_extILj4ELj16ELj2EliaaffEEvb20rocsparse_direction_T3_S2_llNS_24const_host_device_scalarIT7_EEPKT2_PKS2_PKT4_S2_PKT5_llS5_PT6_ll16rocsparse_order_21rocsparse_index_base_b.numbered_sgpr, 32
	.set _ZN9rocsparseL31bsrmm_large_blockdim_kernel_extILj4ELj16ELj2EliaaffEEvb20rocsparse_direction_T3_S2_llNS_24const_host_device_scalarIT7_EEPKT2_PKS2_PKT4_S2_PKT5_llS5_PT6_ll16rocsparse_order_21rocsparse_index_base_b.num_named_barrier, 0
	.set _ZN9rocsparseL31bsrmm_large_blockdim_kernel_extILj4ELj16ELj2EliaaffEEvb20rocsparse_direction_T3_S2_llNS_24const_host_device_scalarIT7_EEPKT2_PKS2_PKT4_S2_PKT5_llS5_PT6_ll16rocsparse_order_21rocsparse_index_base_b.private_seg_size, 0
	.set _ZN9rocsparseL31bsrmm_large_blockdim_kernel_extILj4ELj16ELj2EliaaffEEvb20rocsparse_direction_T3_S2_llNS_24const_host_device_scalarIT7_EEPKT2_PKS2_PKT4_S2_PKT5_llS5_PT6_ll16rocsparse_order_21rocsparse_index_base_b.uses_vcc, 1
	.set _ZN9rocsparseL31bsrmm_large_blockdim_kernel_extILj4ELj16ELj2EliaaffEEvb20rocsparse_direction_T3_S2_llNS_24const_host_device_scalarIT7_EEPKT2_PKS2_PKT4_S2_PKT5_llS5_PT6_ll16rocsparse_order_21rocsparse_index_base_b.uses_flat_scratch, 0
	.set _ZN9rocsparseL31bsrmm_large_blockdim_kernel_extILj4ELj16ELj2EliaaffEEvb20rocsparse_direction_T3_S2_llNS_24const_host_device_scalarIT7_EEPKT2_PKS2_PKT4_S2_PKT5_llS5_PT6_ll16rocsparse_order_21rocsparse_index_base_b.has_dyn_sized_stack, 0
	.set _ZN9rocsparseL31bsrmm_large_blockdim_kernel_extILj4ELj16ELj2EliaaffEEvb20rocsparse_direction_T3_S2_llNS_24const_host_device_scalarIT7_EEPKT2_PKS2_PKT4_S2_PKT5_llS5_PT6_ll16rocsparse_order_21rocsparse_index_base_b.has_recursion, 0
	.set _ZN9rocsparseL31bsrmm_large_blockdim_kernel_extILj4ELj16ELj2EliaaffEEvb20rocsparse_direction_T3_S2_llNS_24const_host_device_scalarIT7_EEPKT2_PKS2_PKT4_S2_PKT5_llS5_PT6_ll16rocsparse_order_21rocsparse_index_base_b.has_indirect_call, 0
	.section	.AMDGPU.csdata,"",@progbits
; Kernel info:
; codeLenInByte = 1724
; TotalNumSgprs: 34
; NumVgprs: 26
; ScratchSize: 0
; MemoryBound: 0
; FloatMode: 240
; IeeeMode: 1
; LDSByteSize: 576 bytes/workgroup (compile time only)
; SGPRBlocks: 0
; VGPRBlocks: 1
; NumSGPRsForWavesPerEU: 34
; NumVGPRsForWavesPerEU: 26
; NamedBarCnt: 0
; Occupancy: 16
; WaveLimiterHint : 1
; COMPUTE_PGM_RSRC2:SCRATCH_EN: 0
; COMPUTE_PGM_RSRC2:USER_SGPR: 2
; COMPUTE_PGM_RSRC2:TRAP_HANDLER: 0
; COMPUTE_PGM_RSRC2:TGID_X_EN: 1
; COMPUTE_PGM_RSRC2:TGID_Y_EN: 1
; COMPUTE_PGM_RSRC2:TGID_Z_EN: 0
; COMPUTE_PGM_RSRC2:TIDIG_COMP_CNT: 1
	.section	.text._ZN9rocsparseL31bsrmm_large_blockdim_kernel_extILj16ELj16ELj2EliaaffEEvb20rocsparse_direction_T3_S2_llNS_24const_host_device_scalarIT7_EEPKT2_PKS2_PKT4_S2_PKT5_llS5_PT6_ll16rocsparse_order_21rocsparse_index_base_b,"axG",@progbits,_ZN9rocsparseL31bsrmm_large_blockdim_kernel_extILj16ELj16ELj2EliaaffEEvb20rocsparse_direction_T3_S2_llNS_24const_host_device_scalarIT7_EEPKT2_PKS2_PKT4_S2_PKT5_llS5_PT6_ll16rocsparse_order_21rocsparse_index_base_b,comdat
	.globl	_ZN9rocsparseL31bsrmm_large_blockdim_kernel_extILj16ELj16ELj2EliaaffEEvb20rocsparse_direction_T3_S2_llNS_24const_host_device_scalarIT7_EEPKT2_PKS2_PKT4_S2_PKT5_llS5_PT6_ll16rocsparse_order_21rocsparse_index_base_b ; -- Begin function _ZN9rocsparseL31bsrmm_large_blockdim_kernel_extILj16ELj16ELj2EliaaffEEvb20rocsparse_direction_T3_S2_llNS_24const_host_device_scalarIT7_EEPKT2_PKS2_PKT4_S2_PKT5_llS5_PT6_ll16rocsparse_order_21rocsparse_index_base_b
	.p2align	8
	.type	_ZN9rocsparseL31bsrmm_large_blockdim_kernel_extILj16ELj16ELj2EliaaffEEvb20rocsparse_direction_T3_S2_llNS_24const_host_device_scalarIT7_EEPKT2_PKS2_PKT4_S2_PKT5_llS5_PT6_ll16rocsparse_order_21rocsparse_index_base_b,@function
_ZN9rocsparseL31bsrmm_large_blockdim_kernel_extILj16ELj16ELj2EliaaffEEvb20rocsparse_direction_T3_S2_llNS_24const_host_device_scalarIT7_EEPKT2_PKS2_PKT4_S2_PKT5_llS5_PT6_ll16rocsparse_order_21rocsparse_index_base_b: ; @_ZN9rocsparseL31bsrmm_large_blockdim_kernel_extILj16ELj16ELj2EliaaffEEvb20rocsparse_direction_T3_S2_llNS_24const_host_device_scalarIT7_EEPKT2_PKS2_PKT4_S2_PKT5_llS5_PT6_ll16rocsparse_order_21rocsparse_index_base_b
; %bb.0:
	s_clause 0x2
	s_load_b96 s[20:22], s[0:1], 0x80
	s_load_b64 s[6:7], s[0:1], 0x20
	s_load_b64 s[24:25], s[0:1], 0x60
	s_wait_kmcnt 0x0
	s_bitcmp1_b32 s22, 0
	s_cselect_b32 s2, -1, 0
	s_delay_alu instid0(SALU_CYCLE_1)
	s_and_b32 vcc_lo, exec_lo, s2
	s_xor_b32 s2, s2, -1
	s_cbranch_vccnz .LBB78_2
; %bb.1:
	s_load_b32 s6, s[6:7], 0x0
.LBB78_2:
	s_and_not1_b32 vcc_lo, exec_lo, s2
	s_cbranch_vccnz .LBB78_4
; %bb.3:
	s_load_b32 s24, s[24:25], 0x0
.LBB78_4:
	s_wait_kmcnt 0x0
	s_cmp_eq_f32 s6, 0
	s_cselect_b32 s2, -1, 0
	s_cmp_eq_f32 s24, 1.0
	s_cselect_b32 s3, -1, 0
	s_delay_alu instid0(SALU_CYCLE_1) | instskip(NEXT) | instid1(SALU_CYCLE_1)
	s_and_b32 s2, s2, s3
	s_and_b32 vcc_lo, exec_lo, s2
	s_cbranch_vccnz .LBB78_48
; %bb.5:
	s_clause 0x1
	s_load_b128 s[8:11], s[0:1], 0x0
	s_load_b64 s[2:3], s[0:1], 0x28
	s_bfe_u32 s4, ttmp6, 0x4000c
	s_and_b32 s5, ttmp6, 15
	s_add_co_i32 s4, s4, 1
	s_mov_b64 s[26:27], 0
	s_mul_i32 s7, ttmp9, s4
	s_getreg_b32 s4, hwreg(HW_REG_IB_STS2, 6, 4)
	s_add_co_i32 s5, s5, s7
	s_cmp_eq_u32 s4, 0
	s_mov_b64 s[28:29], 0
	s_cselect_b32 s22, ttmp9, s5
	s_wait_kmcnt 0x0
	s_cmp_lt_i32 s22, s10
	s_cselect_b32 s7, -1, 0
	s_cmp_ge_i32 s22, s10
	s_cbranch_scc1 .LBB78_7
; %bb.6:
	s_ashr_i32 s23, s22, 31
	s_mov_b32 s15, 0
	s_lshl_b64 s[12:13], s[22:23], 3
	s_mov_b32 s14, s21
	s_add_nc_u64 s[12:13], s[2:3], s[12:13]
	s_load_b64 s[12:13], s[12:13], 0x0
	s_wait_kmcnt 0x0
	s_sub_nc_u64 s[28:29], s[12:13], s[14:15]
.LBB78_7:
	s_and_not1_b32 vcc_lo, exec_lo, s7
	s_cbranch_vccnz .LBB78_9
; %bb.8:
	s_ashr_i32 s23, s22, 31
	s_delay_alu instid0(SALU_CYCLE_1) | instskip(NEXT) | instid1(SALU_CYCLE_1)
	s_lshl_b64 s[12:13], s[22:23], 3
	s_add_nc_u64 s[2:3], s[2:3], s[12:13]
	s_mov_b32 s13, 0
	s_load_b64 s[2:3], s[2:3], 0x8
	s_mov_b32 s12, s21
	s_wait_kmcnt 0x0
	s_sub_nc_u64 s[26:27], s[2:3], s[12:13]
.LBB78_9:
	s_bfe_u32 s2, ttmp6, 0x40010
	s_load_b32 s10, s[0:1], 0x40
	s_add_co_i32 s2, s2, 1
	s_bfe_u32 s3, ttmp6, 0x40004
	s_mul_i32 s2, ttmp7, s2
	v_bfe_u32 v4, v0, 10, 10
	s_add_co_i32 s3, s3, s2
	s_cmp_eq_u32 s4, 0
	v_and_b32_e32 v6, 0x3ff, v0
	s_cselect_b32 s2, ttmp7, s3
	s_delay_alu instid0(SALU_CYCLE_1) | instskip(SKIP_1) | instid1(VALU_DEP_2)
	v_lshl_add_u32 v2, s2, 5, v4
	v_cmp_ge_i64_e64 s2, s[28:29], s[26:27]
	v_add_nc_u32_e32 v0, 16, v2
	v_cmp_gt_i32_e64 s3, s11, v2
	s_and_b32 vcc_lo, exec_lo, s2
	s_wait_kmcnt 0x0
	v_cmp_gt_i32_e64 s2, s10, v6
	v_cmp_gt_i32_e64 s4, s11, v0
	s_cbranch_vccnz .LBB78_27
; %bb.10:
	s_clause 0x1
	s_load_b128 s[12:15], s[0:1], 0x30
	s_load_b128 s[16:19], s[0:1], 0x48
	v_mul_lo_u32 v12, s10, v4
	v_dual_mov_b32 v13, 0 :: v_dual_ashrrev_i32 v3, 31, v2
	v_dual_ashrrev_i32 v1, 31, v0 :: v_dual_lshlrev_b32 v20, 2, v6
	v_cmp_gt_i32_e32 vcc_lo, s10, v4
	s_delay_alu instid0(VALU_DEP_3) | instskip(SKIP_2) | instid1(VALU_DEP_1)
	v_dual_mov_b32 v7, v13 :: v_dual_mov_b32 v5, v13
	v_lshl_add_u32 v21, v4, 2, 0x800
	v_dual_lshlrev_b32 v18, 6, v4 :: v_dual_lshlrev_b32 v22, 6, v6
	v_add_nc_u32_e32 v19, 0x400, v18
	s_delay_alu instid0(VALU_DEP_2)
	v_add_nc_u32_e32 v21, v21, v22
	v_add_nc_u32_e32 v20, v20, v18
	s_wait_kmcnt 0x0
	v_add_nc_u64_e32 v[14:15], s[14:15], v[12:13]
	v_mul_lo_u32 v12, s10, v6
	v_mul_u64_e32 v[8:9], s[18:19], v[2:3]
	v_mul_u64_e32 v[10:11], s[18:19], v[0:1]
	s_delay_alu instid0(VALU_DEP_3)
	v_add_nc_u64_e32 v[16:17], s[14:15], v[12:13]
	s_and_b32 s14, s2, vcc_lo
	v_add_nc_u64_e32 v[12:13], v[14:15], v[6:7]
	s_bitcmp1_b32 s8, 0
	s_mul_i32 s8, s10, s10
	s_cselect_b32 s5, -1, 0
	s_cmp_eq_u32 s9, 0
	v_add_nc_u64_e32 v[4:5], v[16:17], v[4:5]
	s_cselect_b32 vcc_lo, -1, 0
	s_delay_alu instid0(VALU_DEP_1) | instskip(NEXT) | instid1(VALU_DEP_2)
	v_dual_cndmask_b32 v12, v12, v4 :: v_dual_add_nc_u32 v7, 0x800, v22
	v_cndmask_b32_e32 v13, v13, v5, vcc_lo
	v_mov_b64_e32 v[4:5], 0
	s_branch .LBB78_13
.LBB78_11:                              ;   in Loop: Header=BB78_13 Depth=1
	s_or_b32 exec_lo, exec_lo, s15
.LBB78_12:                              ;   in Loop: Header=BB78_13 Depth=1
	s_delay_alu instid0(SALU_CYCLE_1) | instskip(SKIP_1) | instid1(SALU_CYCLE_1)
	s_or_b32 exec_lo, exec_lo, s9
	s_add_nc_u64 s[28:29], s[28:29], 1
	v_cmp_ge_i64_e64 s9, s[28:29], s[26:27]
	s_barrier_signal -1
	s_barrier_wait -1
	s_and_b32 vcc_lo, exec_lo, s9
	s_cbranch_vccnz .LBB78_28
.LBB78_13:                              ; =>This Loop Header: Depth=1
                                        ;     Child Loop BB78_23 Depth 2
                                        ;     Child Loop BB78_26 Depth 2
	s_and_saveexec_b32 s9, s2
	s_cbranch_execz .LBB78_18
; %bb.14:                               ;   in Loop: Header=BB78_13 Depth=1
	s_lshl_b64 s[30:31], s[28:29], 2
	s_delay_alu instid0(SALU_CYCLE_1) | instskip(SKIP_3) | instid1(SALU_CYCLE_1)
	s_add_nc_u64 s[30:31], s[12:13], s[30:31]
	s_load_b32 s15, s[30:31], 0x0
	s_wait_kmcnt 0x0
	s_sub_co_i32 s15, s15, s21
	v_mad_u32 v16, s15, s10, v6
	s_delay_alu instid0(VALU_DEP_1) | instskip(SKIP_1) | instid1(VALU_DEP_2)
	v_mad_nc_u64_u32 v[14:15], s18, v16, s[16:17]
	v_ashrrev_i32_e32 v17, 31, v16
	v_mad_u32 v15, s19, v16, v15
	s_delay_alu instid0(VALU_DEP_1)
	v_mad_u32 v15, s18, v17, v15
	v_add_nc_u64_e32 v[16:17], s[16:17], v[16:17]
	s_and_saveexec_b32 s15, s3
	s_cbranch_execz .LBB78_16
; %bb.15:                               ;   in Loop: Header=BB78_13 Depth=1
	s_delay_alu instid0(VALU_DEP_2) | instskip(NEXT) | instid1(VALU_DEP_2)
	v_add_nc_u64_e32 v[22:23], v[14:15], v[2:3]
	v_add_nc_u64_e32 v[24:25], v[16:17], v[8:9]
	s_delay_alu instid0(VALU_DEP_1)
	v_dual_cndmask_b32 v23, v23, v25, s5 :: v_dual_cndmask_b32 v22, v22, v24, s5
	global_load_i8 v22, v[22:23], off
	s_wait_loadcnt 0x0
	v_cvt_f32_i32_e32 v22, v22
	ds_store_b32 v20, v22
.LBB78_16:                              ;   in Loop: Header=BB78_13 Depth=1
	s_or_b32 exec_lo, exec_lo, s15
	s_delay_alu instid0(SALU_CYCLE_1)
	s_and_b32 exec_lo, exec_lo, s4
	s_cbranch_execz .LBB78_18
; %bb.17:                               ;   in Loop: Header=BB78_13 Depth=1
	s_delay_alu instid0(VALU_DEP_1) | instskip(NEXT) | instid1(VALU_DEP_3)
	v_add_nc_u64_e32 v[16:17], v[16:17], v[10:11]
	v_add_nc_u64_e32 v[14:15], v[14:15], v[0:1]
	s_delay_alu instid0(VALU_DEP_1)
	v_dual_cndmask_b32 v15, v15, v17, s5 :: v_dual_cndmask_b32 v14, v14, v16, s5
	global_load_i8 v14, v[14:15], off
	s_wait_loadcnt 0x0
	v_cvt_f32_i32_e32 v14, v14
	ds_store_b32 v20, v14 offset:1024
.LBB78_18:                              ;   in Loop: Header=BB78_13 Depth=1
	s_or_b32 exec_lo, exec_lo, s9
	s_and_saveexec_b32 s9, s14
	s_cbranch_execz .LBB78_20
; %bb.19:                               ;   in Loop: Header=BB78_13 Depth=1
	v_mad_nc_u64_u32 v[14:15], s28, s8, v[12:13]
	s_delay_alu instid0(VALU_DEP_1)
	v_mad_u32 v15, s29, s8, v15
	global_load_i8 v14, v[14:15], off
	s_wait_loadcnt 0x0
	v_cvt_f32_i32_e32 v14, v14
	ds_store_b32 v21, v14
.LBB78_20:                              ;   in Loop: Header=BB78_13 Depth=1
	s_or_b32 exec_lo, exec_lo, s9
	s_wait_dscnt 0x0
	s_barrier_signal -1
	s_barrier_wait -1
	s_and_saveexec_b32 s9, s2
	s_cbranch_execz .LBB78_12
; %bb.21:                               ;   in Loop: Header=BB78_13 Depth=1
	s_and_saveexec_b32 s15, s3
	s_cbranch_execz .LBB78_24
; %bb.22:                               ;   in Loop: Header=BB78_13 Depth=1
	v_dual_mov_b32 v14, v7 :: v_dual_mov_b32 v15, v18
	s_mov_b32 s23, s10
.LBB78_23:                              ;   Parent Loop BB78_13 Depth=1
                                        ; =>  This Inner Loop Header: Depth=2
	ds_load_b32 v16, v14
	ds_load_b32 v17, v15
	v_dual_add_nc_u32 v15, 4, v15 :: v_dual_add_nc_u32 v14, 4, v14
	s_add_co_i32 s23, s23, -1
	s_delay_alu instid0(SALU_CYCLE_1)
	s_cmp_lg_u32 s23, 0
	s_wait_dscnt 0x0
	v_fma_f32 v4, v16, v17, v4
	s_cbranch_scc1 .LBB78_23
.LBB78_24:                              ;   in Loop: Header=BB78_13 Depth=1
	s_or_b32 exec_lo, exec_lo, s15
	s_and_saveexec_b32 s15, s4
	s_cbranch_execz .LBB78_11
; %bb.25:                               ;   in Loop: Header=BB78_13 Depth=1
	v_dual_mov_b32 v14, v7 :: v_dual_mov_b32 v15, v19
	s_mov_b32 s23, s10
.LBB78_26:                              ;   Parent Loop BB78_13 Depth=1
                                        ; =>  This Inner Loop Header: Depth=2
	ds_load_b32 v16, v14
	ds_load_b32 v17, v15
	v_dual_add_nc_u32 v15, 4, v15 :: v_dual_add_nc_u32 v14, 4, v14
	s_add_co_i32 s23, s23, -1
	s_delay_alu instid0(SALU_CYCLE_1)
	s_cmp_lg_u32 s23, 0
	s_wait_dscnt 0x0
	v_fma_f32 v5, v16, v17, v5
	s_cbranch_scc1 .LBB78_26
	s_branch .LBB78_11
.LBB78_27:
	v_mov_b64_e32 v[4:5], 0
.LBB78_28:
	s_load_b64 s[4:5], s[0:1], 0x68
	s_and_b32 s2, s7, s2
	s_delay_alu instid0(SALU_CYCLE_1)
	s_and_saveexec_b32 s3, s2
	s_cbranch_execz .LBB78_48
; %bb.29:
	s_load_b64 s[2:3], s[0:1], 0x70
	v_mad_u32 v6, s10, s22, v6
	s_cmp_neq_f32 s24, 0
	s_wait_xcnt 0x0
	s_mov_b32 s0, exec_lo
	s_cselect_b32 s7, -1, 0
	s_cmp_lg_u32 s20, 1
	s_cselect_b32 s1, -1, 0
	s_delay_alu instid0(VALU_DEP_1) | instskip(SKIP_1) | instid1(VALU_DEP_1)
	v_ashrrev_i32_e32 v7, 31, v6
	s_wait_kmcnt 0x0
	v_mul_u64_e32 v[8:9], s[2:3], v[6:7]
	v_lshl_add_u64 v[6:7], v[6:7], 2, s[4:5]
	s_delay_alu instid0(VALU_DEP_2)
	v_lshl_add_u64 v[8:9], v[8:9], 2, s[4:5]
	v_cmpx_gt_i32_e64 s11, v2
	s_cbranch_execz .LBB78_41
; %bb.30:
	v_ashrrev_i32_e32 v3, 31, v2
	s_and_b32 vcc_lo, exec_lo, s7
	s_cbranch_vccz .LBB78_36
; %bb.31:
	s_and_b32 vcc_lo, exec_lo, s1
	s_mov_b32 s4, -1
	s_cbranch_vccz .LBB78_33
; %bb.32:
	v_lshl_add_u64 v[10:11], v[2:3], 2, v[8:9]
	v_mul_f32_e32 v12, s6, v4
	s_mov_b32 s4, 0
	global_load_b32 v1, v[10:11], off
	s_wait_loadcnt 0x0
	v_fmac_f32_e32 v12, s24, v1
	global_store_b32 v[10:11], v12, off
.LBB78_33:
	s_and_not1_b32 vcc_lo, exec_lo, s4
	s_cbranch_vccnz .LBB78_35
; %bb.34:
	s_wait_xcnt 0x0
	v_mul_u64_e32 v[10:11], s[2:3], v[2:3]
	v_mul_f32_e32 v12, s6, v4
	s_delay_alu instid0(VALU_DEP_2)
	v_lshl_add_u64 v[10:11], v[10:11], 2, v[6:7]
	global_load_b32 v1, v[10:11], off
	s_wait_loadcnt 0x0
	v_fmac_f32_e32 v12, s24, v1
	global_store_b32 v[10:11], v12, off
.LBB78_35:
	s_cbranch_execz .LBB78_37
	s_branch .LBB78_41
.LBB78_36:
.LBB78_37:
	v_mul_f32_e32 v1, s6, v4
	s_and_b32 vcc_lo, exec_lo, s1
	s_mov_b32 s4, -1
	s_cbranch_vccz .LBB78_39
; %bb.38:
	s_wait_xcnt 0x0
	v_lshl_add_u64 v[10:11], v[2:3], 2, v[8:9]
	s_mov_b32 s4, 0
	global_store_b32 v[10:11], v1, off
.LBB78_39:
	s_and_not1_b32 vcc_lo, exec_lo, s4
	s_cbranch_vccnz .LBB78_41
; %bb.40:
	v_mul_u64_e32 v[2:3], s[2:3], v[2:3]
	s_delay_alu instid0(VALU_DEP_1)
	v_lshl_add_u64 v[2:3], v[2:3], 2, v[6:7]
	global_store_b32 v[2:3], v1, off
.LBB78_41:
	s_wait_xcnt 0x0
	s_or_b32 exec_lo, exec_lo, s0
	v_cmp_gt_i32_e32 vcc_lo, s11, v0
	s_and_b32 exec_lo, exec_lo, vcc_lo
	s_cbranch_execz .LBB78_48
; %bb.42:
	v_cndmask_b32_e64 v2, 0, 1, s1
	v_ashrrev_i32_e32 v1, 31, v0
	s_and_not1_b32 vcc_lo, exec_lo, s7
	s_delay_alu instid0(VALU_DEP_2)
	v_cmp_ne_u32_e64 s0, 1, v2
	s_cbranch_vccnz .LBB78_49
; %bb.43:
	s_and_b32 vcc_lo, exec_lo, s0
	s_mov_b32 s0, -1
	s_cbranch_vccnz .LBB78_45
; %bb.44:
	v_lshl_add_u64 v[2:3], v[0:1], 2, v[8:9]
	v_mul_f32_e32 v10, s6, v5
	s_mov_b32 s0, 0
	global_load_b32 v4, v[2:3], off
	s_wait_loadcnt 0x0
	v_fmac_f32_e32 v10, s24, v4
	global_store_b32 v[2:3], v10, off
.LBB78_45:
	s_and_not1_b32 vcc_lo, exec_lo, s0
	s_cbranch_vccnz .LBB78_47
; %bb.46:
	s_wait_xcnt 0x0
	v_mul_u64_e32 v[2:3], s[2:3], v[0:1]
	v_mul_f32_e32 v10, s6, v5
	s_delay_alu instid0(VALU_DEP_2)
	v_lshl_add_u64 v[2:3], v[2:3], 2, v[6:7]
	global_load_b32 v4, v[2:3], off
	s_wait_loadcnt 0x0
	v_fmac_f32_e32 v10, s24, v4
	global_store_b32 v[2:3], v10, off
.LBB78_47:
	s_cbranch_execz .LBB78_50
.LBB78_48:
	s_endpgm
.LBB78_49:
.LBB78_50:
	s_wait_xcnt 0x0
	v_mul_f32_e32 v2, s6, v5
	s_and_not1_b32 vcc_lo, exec_lo, s1
	s_mov_b32 s0, -1
	s_cbranch_vccnz .LBB78_52
; %bb.51:
	v_lshl_add_u64 v[4:5], v[0:1], 2, v[8:9]
	s_mov_b32 s0, 0
	global_store_b32 v[4:5], v2, off
.LBB78_52:
	s_and_not1_b32 vcc_lo, exec_lo, s0
	s_cbranch_vccnz .LBB78_48
; %bb.53:
	v_mul_u64_e32 v[0:1], s[2:3], v[0:1]
	s_delay_alu instid0(VALU_DEP_1)
	v_lshl_add_u64 v[0:1], v[0:1], 2, v[6:7]
	global_store_b32 v[0:1], v2, off
	s_endpgm
	.section	.rodata,"a",@progbits
	.p2align	6, 0x0
	.amdhsa_kernel _ZN9rocsparseL31bsrmm_large_blockdim_kernel_extILj16ELj16ELj2EliaaffEEvb20rocsparse_direction_T3_S2_llNS_24const_host_device_scalarIT7_EEPKT2_PKS2_PKT4_S2_PKT5_llS5_PT6_ll16rocsparse_order_21rocsparse_index_base_b
		.amdhsa_group_segment_fixed_size 3072
		.amdhsa_private_segment_fixed_size 0
		.amdhsa_kernarg_size 140
		.amdhsa_user_sgpr_count 2
		.amdhsa_user_sgpr_dispatch_ptr 0
		.amdhsa_user_sgpr_queue_ptr 0
		.amdhsa_user_sgpr_kernarg_segment_ptr 1
		.amdhsa_user_sgpr_dispatch_id 0
		.amdhsa_user_sgpr_kernarg_preload_length 0
		.amdhsa_user_sgpr_kernarg_preload_offset 0
		.amdhsa_user_sgpr_private_segment_size 0
		.amdhsa_wavefront_size32 1
		.amdhsa_uses_dynamic_stack 0
		.amdhsa_enable_private_segment 0
		.amdhsa_system_sgpr_workgroup_id_x 1
		.amdhsa_system_sgpr_workgroup_id_y 1
		.amdhsa_system_sgpr_workgroup_id_z 0
		.amdhsa_system_sgpr_workgroup_info 0
		.amdhsa_system_vgpr_workitem_id 1
		.amdhsa_next_free_vgpr 26
		.amdhsa_next_free_sgpr 32
		.amdhsa_named_barrier_count 0
		.amdhsa_reserve_vcc 1
		.amdhsa_float_round_mode_32 0
		.amdhsa_float_round_mode_16_64 0
		.amdhsa_float_denorm_mode_32 3
		.amdhsa_float_denorm_mode_16_64 3
		.amdhsa_fp16_overflow 0
		.amdhsa_memory_ordered 1
		.amdhsa_forward_progress 1
		.amdhsa_inst_pref_size 14
		.amdhsa_round_robin_scheduling 0
		.amdhsa_exception_fp_ieee_invalid_op 0
		.amdhsa_exception_fp_denorm_src 0
		.amdhsa_exception_fp_ieee_div_zero 0
		.amdhsa_exception_fp_ieee_overflow 0
		.amdhsa_exception_fp_ieee_underflow 0
		.amdhsa_exception_fp_ieee_inexact 0
		.amdhsa_exception_int_div_zero 0
	.end_amdhsa_kernel
	.section	.text._ZN9rocsparseL31bsrmm_large_blockdim_kernel_extILj16ELj16ELj2EliaaffEEvb20rocsparse_direction_T3_S2_llNS_24const_host_device_scalarIT7_EEPKT2_PKS2_PKT4_S2_PKT5_llS5_PT6_ll16rocsparse_order_21rocsparse_index_base_b,"axG",@progbits,_ZN9rocsparseL31bsrmm_large_blockdim_kernel_extILj16ELj16ELj2EliaaffEEvb20rocsparse_direction_T3_S2_llNS_24const_host_device_scalarIT7_EEPKT2_PKS2_PKT4_S2_PKT5_llS5_PT6_ll16rocsparse_order_21rocsparse_index_base_b,comdat
.Lfunc_end78:
	.size	_ZN9rocsparseL31bsrmm_large_blockdim_kernel_extILj16ELj16ELj2EliaaffEEvb20rocsparse_direction_T3_S2_llNS_24const_host_device_scalarIT7_EEPKT2_PKS2_PKT4_S2_PKT5_llS5_PT6_ll16rocsparse_order_21rocsparse_index_base_b, .Lfunc_end78-_ZN9rocsparseL31bsrmm_large_blockdim_kernel_extILj16ELj16ELj2EliaaffEEvb20rocsparse_direction_T3_S2_llNS_24const_host_device_scalarIT7_EEPKT2_PKS2_PKT4_S2_PKT5_llS5_PT6_ll16rocsparse_order_21rocsparse_index_base_b
                                        ; -- End function
	.set _ZN9rocsparseL31bsrmm_large_blockdim_kernel_extILj16ELj16ELj2EliaaffEEvb20rocsparse_direction_T3_S2_llNS_24const_host_device_scalarIT7_EEPKT2_PKS2_PKT4_S2_PKT5_llS5_PT6_ll16rocsparse_order_21rocsparse_index_base_b.num_vgpr, 26
	.set _ZN9rocsparseL31bsrmm_large_blockdim_kernel_extILj16ELj16ELj2EliaaffEEvb20rocsparse_direction_T3_S2_llNS_24const_host_device_scalarIT7_EEPKT2_PKS2_PKT4_S2_PKT5_llS5_PT6_ll16rocsparse_order_21rocsparse_index_base_b.num_agpr, 0
	.set _ZN9rocsparseL31bsrmm_large_blockdim_kernel_extILj16ELj16ELj2EliaaffEEvb20rocsparse_direction_T3_S2_llNS_24const_host_device_scalarIT7_EEPKT2_PKS2_PKT4_S2_PKT5_llS5_PT6_ll16rocsparse_order_21rocsparse_index_base_b.numbered_sgpr, 32
	.set _ZN9rocsparseL31bsrmm_large_blockdim_kernel_extILj16ELj16ELj2EliaaffEEvb20rocsparse_direction_T3_S2_llNS_24const_host_device_scalarIT7_EEPKT2_PKS2_PKT4_S2_PKT5_llS5_PT6_ll16rocsparse_order_21rocsparse_index_base_b.num_named_barrier, 0
	.set _ZN9rocsparseL31bsrmm_large_blockdim_kernel_extILj16ELj16ELj2EliaaffEEvb20rocsparse_direction_T3_S2_llNS_24const_host_device_scalarIT7_EEPKT2_PKS2_PKT4_S2_PKT5_llS5_PT6_ll16rocsparse_order_21rocsparse_index_base_b.private_seg_size, 0
	.set _ZN9rocsparseL31bsrmm_large_blockdim_kernel_extILj16ELj16ELj2EliaaffEEvb20rocsparse_direction_T3_S2_llNS_24const_host_device_scalarIT7_EEPKT2_PKS2_PKT4_S2_PKT5_llS5_PT6_ll16rocsparse_order_21rocsparse_index_base_b.uses_vcc, 1
	.set _ZN9rocsparseL31bsrmm_large_blockdim_kernel_extILj16ELj16ELj2EliaaffEEvb20rocsparse_direction_T3_S2_llNS_24const_host_device_scalarIT7_EEPKT2_PKS2_PKT4_S2_PKT5_llS5_PT6_ll16rocsparse_order_21rocsparse_index_base_b.uses_flat_scratch, 0
	.set _ZN9rocsparseL31bsrmm_large_blockdim_kernel_extILj16ELj16ELj2EliaaffEEvb20rocsparse_direction_T3_S2_llNS_24const_host_device_scalarIT7_EEPKT2_PKS2_PKT4_S2_PKT5_llS5_PT6_ll16rocsparse_order_21rocsparse_index_base_b.has_dyn_sized_stack, 0
	.set _ZN9rocsparseL31bsrmm_large_blockdim_kernel_extILj16ELj16ELj2EliaaffEEvb20rocsparse_direction_T3_S2_llNS_24const_host_device_scalarIT7_EEPKT2_PKS2_PKT4_S2_PKT5_llS5_PT6_ll16rocsparse_order_21rocsparse_index_base_b.has_recursion, 0
	.set _ZN9rocsparseL31bsrmm_large_blockdim_kernel_extILj16ELj16ELj2EliaaffEEvb20rocsparse_direction_T3_S2_llNS_24const_host_device_scalarIT7_EEPKT2_PKS2_PKT4_S2_PKT5_llS5_PT6_ll16rocsparse_order_21rocsparse_index_base_b.has_indirect_call, 0
	.section	.AMDGPU.csdata,"",@progbits
; Kernel info:
; codeLenInByte = 1724
; TotalNumSgprs: 34
; NumVgprs: 26
; ScratchSize: 0
; MemoryBound: 0
; FloatMode: 240
; IeeeMode: 1
; LDSByteSize: 3072 bytes/workgroup (compile time only)
; SGPRBlocks: 0
; VGPRBlocks: 1
; NumSGPRsForWavesPerEU: 34
; NumVGPRsForWavesPerEU: 26
; NamedBarCnt: 0
; Occupancy: 16
; WaveLimiterHint : 1
; COMPUTE_PGM_RSRC2:SCRATCH_EN: 0
; COMPUTE_PGM_RSRC2:USER_SGPR: 2
; COMPUTE_PGM_RSRC2:TRAP_HANDLER: 0
; COMPUTE_PGM_RSRC2:TGID_X_EN: 1
; COMPUTE_PGM_RSRC2:TGID_Y_EN: 1
; COMPUTE_PGM_RSRC2:TGID_Z_EN: 0
; COMPUTE_PGM_RSRC2:TIDIG_COMP_CNT: 1
	.section	.text._ZN9rocsparseL31bsrmm_large_blockdim_kernel_extILj32ELj32ELj2EliaaffEEvb20rocsparse_direction_T3_S2_llNS_24const_host_device_scalarIT7_EEPKT2_PKS2_PKT4_S2_PKT5_llS5_PT6_ll16rocsparse_order_21rocsparse_index_base_b,"axG",@progbits,_ZN9rocsparseL31bsrmm_large_blockdim_kernel_extILj32ELj32ELj2EliaaffEEvb20rocsparse_direction_T3_S2_llNS_24const_host_device_scalarIT7_EEPKT2_PKS2_PKT4_S2_PKT5_llS5_PT6_ll16rocsparse_order_21rocsparse_index_base_b,comdat
	.globl	_ZN9rocsparseL31bsrmm_large_blockdim_kernel_extILj32ELj32ELj2EliaaffEEvb20rocsparse_direction_T3_S2_llNS_24const_host_device_scalarIT7_EEPKT2_PKS2_PKT4_S2_PKT5_llS5_PT6_ll16rocsparse_order_21rocsparse_index_base_b ; -- Begin function _ZN9rocsparseL31bsrmm_large_blockdim_kernel_extILj32ELj32ELj2EliaaffEEvb20rocsparse_direction_T3_S2_llNS_24const_host_device_scalarIT7_EEPKT2_PKS2_PKT4_S2_PKT5_llS5_PT6_ll16rocsparse_order_21rocsparse_index_base_b
	.p2align	8
	.type	_ZN9rocsparseL31bsrmm_large_blockdim_kernel_extILj32ELj32ELj2EliaaffEEvb20rocsparse_direction_T3_S2_llNS_24const_host_device_scalarIT7_EEPKT2_PKS2_PKT4_S2_PKT5_llS5_PT6_ll16rocsparse_order_21rocsparse_index_base_b,@function
_ZN9rocsparseL31bsrmm_large_blockdim_kernel_extILj32ELj32ELj2EliaaffEEvb20rocsparse_direction_T3_S2_llNS_24const_host_device_scalarIT7_EEPKT2_PKS2_PKT4_S2_PKT5_llS5_PT6_ll16rocsparse_order_21rocsparse_index_base_b: ; @_ZN9rocsparseL31bsrmm_large_blockdim_kernel_extILj32ELj32ELj2EliaaffEEvb20rocsparse_direction_T3_S2_llNS_24const_host_device_scalarIT7_EEPKT2_PKS2_PKT4_S2_PKT5_llS5_PT6_ll16rocsparse_order_21rocsparse_index_base_b
; %bb.0:
	s_clause 0x2
	s_load_b96 s[20:22], s[0:1], 0x80
	s_load_b64 s[6:7], s[0:1], 0x20
	s_load_b64 s[24:25], s[0:1], 0x60
	s_wait_kmcnt 0x0
	s_bitcmp1_b32 s22, 0
	s_cselect_b32 s2, -1, 0
	s_delay_alu instid0(SALU_CYCLE_1)
	s_and_b32 vcc_lo, exec_lo, s2
	s_xor_b32 s2, s2, -1
	s_cbranch_vccnz .LBB79_2
; %bb.1:
	s_load_b32 s6, s[6:7], 0x0
.LBB79_2:
	s_and_not1_b32 vcc_lo, exec_lo, s2
	s_cbranch_vccnz .LBB79_4
; %bb.3:
	s_load_b32 s24, s[24:25], 0x0
.LBB79_4:
	s_wait_kmcnt 0x0
	s_cmp_eq_f32 s6, 0
	s_cselect_b32 s2, -1, 0
	s_cmp_eq_f32 s24, 1.0
	s_cselect_b32 s3, -1, 0
	s_delay_alu instid0(SALU_CYCLE_1) | instskip(NEXT) | instid1(SALU_CYCLE_1)
	s_and_b32 s2, s2, s3
	s_and_b32 vcc_lo, exec_lo, s2
	s_cbranch_vccnz .LBB79_48
; %bb.5:
	s_clause 0x1
	s_load_b128 s[8:11], s[0:1], 0x0
	s_load_b64 s[2:3], s[0:1], 0x28
	s_bfe_u32 s4, ttmp6, 0x4000c
	s_and_b32 s5, ttmp6, 15
	s_add_co_i32 s4, s4, 1
	s_mov_b64 s[26:27], 0
	s_mul_i32 s7, ttmp9, s4
	s_getreg_b32 s4, hwreg(HW_REG_IB_STS2, 6, 4)
	s_add_co_i32 s5, s5, s7
	s_cmp_eq_u32 s4, 0
	s_mov_b64 s[28:29], 0
	s_cselect_b32 s22, ttmp9, s5
	s_wait_kmcnt 0x0
	s_cmp_lt_i32 s22, s10
	s_cselect_b32 s7, -1, 0
	s_cmp_ge_i32 s22, s10
	s_cbranch_scc1 .LBB79_7
; %bb.6:
	s_ashr_i32 s23, s22, 31
	s_mov_b32 s15, 0
	s_lshl_b64 s[12:13], s[22:23], 3
	s_mov_b32 s14, s21
	s_add_nc_u64 s[12:13], s[2:3], s[12:13]
	s_load_b64 s[12:13], s[12:13], 0x0
	s_wait_kmcnt 0x0
	s_sub_nc_u64 s[28:29], s[12:13], s[14:15]
.LBB79_7:
	s_and_not1_b32 vcc_lo, exec_lo, s7
	s_cbranch_vccnz .LBB79_9
; %bb.8:
	s_ashr_i32 s23, s22, 31
	s_delay_alu instid0(SALU_CYCLE_1) | instskip(NEXT) | instid1(SALU_CYCLE_1)
	s_lshl_b64 s[12:13], s[22:23], 3
	s_add_nc_u64 s[2:3], s[2:3], s[12:13]
	s_mov_b32 s13, 0
	s_load_b64 s[2:3], s[2:3], 0x8
	s_mov_b32 s12, s21
	s_wait_kmcnt 0x0
	s_sub_nc_u64 s[26:27], s[2:3], s[12:13]
.LBB79_9:
	s_bfe_u32 s2, ttmp6, 0x40010
	s_load_b32 s10, s[0:1], 0x40
	s_add_co_i32 s2, s2, 1
	s_bfe_u32 s3, ttmp6, 0x40004
	s_mul_i32 s2, ttmp7, s2
	v_bfe_u32 v4, v0, 10, 10
	s_add_co_i32 s3, s3, s2
	s_cmp_eq_u32 s4, 0
	v_and_b32_e32 v6, 0x3ff, v0
	s_cselect_b32 s2, ttmp7, s3
	s_delay_alu instid0(SALU_CYCLE_1) | instskip(SKIP_1) | instid1(VALU_DEP_2)
	v_lshl_add_u32 v2, s2, 6, v4
	v_cmp_ge_i64_e64 s2, s[28:29], s[26:27]
	v_add_nc_u32_e32 v0, 32, v2
	v_cmp_gt_i32_e64 s3, s11, v2
	s_and_b32 vcc_lo, exec_lo, s2
	s_wait_kmcnt 0x0
	v_cmp_gt_i32_e64 s2, s10, v6
	v_cmp_gt_i32_e64 s4, s11, v0
	s_cbranch_vccnz .LBB79_27
; %bb.10:
	s_clause 0x1
	s_load_b128 s[12:15], s[0:1], 0x30
	s_load_b128 s[16:19], s[0:1], 0x48
	v_mul_lo_u32 v12, s10, v4
	v_dual_mov_b32 v13, 0 :: v_dual_ashrrev_i32 v3, 31, v2
	v_dual_ashrrev_i32 v1, 31, v0 :: v_dual_lshlrev_b32 v20, 2, v6
	v_cmp_gt_i32_e32 vcc_lo, s10, v4
	s_delay_alu instid0(VALU_DEP_3) | instskip(SKIP_2) | instid1(VALU_DEP_1)
	v_dual_mov_b32 v7, v13 :: v_dual_mov_b32 v5, v13
	v_lshl_or_b32 v21, v4, 2, 0x2000
	v_dual_lshlrev_b32 v18, 7, v4 :: v_dual_lshlrev_b32 v22, 7, v6
	v_add_nc_u32_e32 v19, 0x1000, v18
	s_delay_alu instid0(VALU_DEP_2)
	v_add_nc_u32_e32 v21, v21, v22
	v_add_nc_u32_e32 v20, v20, v18
	s_wait_kmcnt 0x0
	v_add_nc_u64_e32 v[14:15], s[14:15], v[12:13]
	v_mul_lo_u32 v12, s10, v6
	v_mul_u64_e32 v[8:9], s[18:19], v[2:3]
	v_mul_u64_e32 v[10:11], s[18:19], v[0:1]
	s_delay_alu instid0(VALU_DEP_3)
	v_add_nc_u64_e32 v[16:17], s[14:15], v[12:13]
	s_and_b32 s14, s2, vcc_lo
	v_add_nc_u64_e32 v[12:13], v[14:15], v[6:7]
	s_bitcmp1_b32 s8, 0
	s_mul_i32 s8, s10, s10
	s_cselect_b32 s5, -1, 0
	s_cmp_eq_u32 s9, 0
	v_add_nc_u64_e32 v[4:5], v[16:17], v[4:5]
	s_cselect_b32 vcc_lo, -1, 0
	s_delay_alu instid0(VALU_DEP_1) | instskip(NEXT) | instid1(VALU_DEP_2)
	v_dual_cndmask_b32 v12, v12, v4 :: v_dual_add_nc_u32 v7, 0x2000, v22
	v_cndmask_b32_e32 v13, v13, v5, vcc_lo
	v_mov_b64_e32 v[4:5], 0
	s_branch .LBB79_13
.LBB79_11:                              ;   in Loop: Header=BB79_13 Depth=1
	s_or_b32 exec_lo, exec_lo, s15
.LBB79_12:                              ;   in Loop: Header=BB79_13 Depth=1
	s_delay_alu instid0(SALU_CYCLE_1) | instskip(SKIP_1) | instid1(SALU_CYCLE_1)
	s_or_b32 exec_lo, exec_lo, s9
	s_add_nc_u64 s[28:29], s[28:29], 1
	v_cmp_ge_i64_e64 s9, s[28:29], s[26:27]
	s_barrier_signal -1
	s_barrier_wait -1
	s_and_b32 vcc_lo, exec_lo, s9
	s_cbranch_vccnz .LBB79_28
.LBB79_13:                              ; =>This Loop Header: Depth=1
                                        ;     Child Loop BB79_23 Depth 2
                                        ;     Child Loop BB79_26 Depth 2
	s_and_saveexec_b32 s9, s2
	s_cbranch_execz .LBB79_18
; %bb.14:                               ;   in Loop: Header=BB79_13 Depth=1
	s_lshl_b64 s[30:31], s[28:29], 2
	s_delay_alu instid0(SALU_CYCLE_1) | instskip(SKIP_3) | instid1(SALU_CYCLE_1)
	s_add_nc_u64 s[30:31], s[12:13], s[30:31]
	s_load_b32 s15, s[30:31], 0x0
	s_wait_kmcnt 0x0
	s_sub_co_i32 s15, s15, s21
	v_mad_u32 v16, s15, s10, v6
	s_delay_alu instid0(VALU_DEP_1) | instskip(SKIP_1) | instid1(VALU_DEP_2)
	v_mad_nc_u64_u32 v[14:15], s18, v16, s[16:17]
	v_ashrrev_i32_e32 v17, 31, v16
	v_mad_u32 v15, s19, v16, v15
	s_delay_alu instid0(VALU_DEP_1)
	v_mad_u32 v15, s18, v17, v15
	v_add_nc_u64_e32 v[16:17], s[16:17], v[16:17]
	s_and_saveexec_b32 s15, s3
	s_cbranch_execz .LBB79_16
; %bb.15:                               ;   in Loop: Header=BB79_13 Depth=1
	s_delay_alu instid0(VALU_DEP_2) | instskip(NEXT) | instid1(VALU_DEP_2)
	v_add_nc_u64_e32 v[22:23], v[14:15], v[2:3]
	v_add_nc_u64_e32 v[24:25], v[16:17], v[8:9]
	s_delay_alu instid0(VALU_DEP_1)
	v_dual_cndmask_b32 v23, v23, v25, s5 :: v_dual_cndmask_b32 v22, v22, v24, s5
	global_load_i8 v22, v[22:23], off
	s_wait_loadcnt 0x0
	v_cvt_f32_i32_e32 v22, v22
	ds_store_b32 v20, v22
.LBB79_16:                              ;   in Loop: Header=BB79_13 Depth=1
	s_or_b32 exec_lo, exec_lo, s15
	s_delay_alu instid0(SALU_CYCLE_1)
	s_and_b32 exec_lo, exec_lo, s4
	s_cbranch_execz .LBB79_18
; %bb.17:                               ;   in Loop: Header=BB79_13 Depth=1
	s_delay_alu instid0(VALU_DEP_1) | instskip(NEXT) | instid1(VALU_DEP_3)
	v_add_nc_u64_e32 v[16:17], v[16:17], v[10:11]
	v_add_nc_u64_e32 v[14:15], v[14:15], v[0:1]
	s_delay_alu instid0(VALU_DEP_1)
	v_dual_cndmask_b32 v15, v15, v17, s5 :: v_dual_cndmask_b32 v14, v14, v16, s5
	global_load_i8 v14, v[14:15], off
	s_wait_loadcnt 0x0
	v_cvt_f32_i32_e32 v14, v14
	ds_store_b32 v20, v14 offset:4096
.LBB79_18:                              ;   in Loop: Header=BB79_13 Depth=1
	s_or_b32 exec_lo, exec_lo, s9
	s_and_saveexec_b32 s9, s14
	s_cbranch_execz .LBB79_20
; %bb.19:                               ;   in Loop: Header=BB79_13 Depth=1
	v_mad_nc_u64_u32 v[14:15], s28, s8, v[12:13]
	s_delay_alu instid0(VALU_DEP_1)
	v_mad_u32 v15, s29, s8, v15
	global_load_i8 v14, v[14:15], off
	s_wait_loadcnt 0x0
	v_cvt_f32_i32_e32 v14, v14
	ds_store_b32 v21, v14
.LBB79_20:                              ;   in Loop: Header=BB79_13 Depth=1
	s_or_b32 exec_lo, exec_lo, s9
	s_wait_dscnt 0x0
	s_barrier_signal -1
	s_barrier_wait -1
	s_and_saveexec_b32 s9, s2
	s_cbranch_execz .LBB79_12
; %bb.21:                               ;   in Loop: Header=BB79_13 Depth=1
	s_and_saveexec_b32 s15, s3
	s_cbranch_execz .LBB79_24
; %bb.22:                               ;   in Loop: Header=BB79_13 Depth=1
	v_dual_mov_b32 v14, v7 :: v_dual_mov_b32 v15, v18
	s_mov_b32 s23, s10
.LBB79_23:                              ;   Parent Loop BB79_13 Depth=1
                                        ; =>  This Inner Loop Header: Depth=2
	ds_load_b32 v16, v14
	ds_load_b32 v17, v15
	v_dual_add_nc_u32 v15, 4, v15 :: v_dual_add_nc_u32 v14, 4, v14
	s_add_co_i32 s23, s23, -1
	s_delay_alu instid0(SALU_CYCLE_1)
	s_cmp_lg_u32 s23, 0
	s_wait_dscnt 0x0
	v_fma_f32 v4, v16, v17, v4
	s_cbranch_scc1 .LBB79_23
.LBB79_24:                              ;   in Loop: Header=BB79_13 Depth=1
	s_or_b32 exec_lo, exec_lo, s15
	s_and_saveexec_b32 s15, s4
	s_cbranch_execz .LBB79_11
; %bb.25:                               ;   in Loop: Header=BB79_13 Depth=1
	v_dual_mov_b32 v14, v7 :: v_dual_mov_b32 v15, v19
	s_mov_b32 s23, s10
.LBB79_26:                              ;   Parent Loop BB79_13 Depth=1
                                        ; =>  This Inner Loop Header: Depth=2
	ds_load_b32 v16, v14
	ds_load_b32 v17, v15
	v_dual_add_nc_u32 v15, 4, v15 :: v_dual_add_nc_u32 v14, 4, v14
	s_add_co_i32 s23, s23, -1
	s_delay_alu instid0(SALU_CYCLE_1)
	s_cmp_lg_u32 s23, 0
	s_wait_dscnt 0x0
	v_fma_f32 v5, v16, v17, v5
	s_cbranch_scc1 .LBB79_26
	s_branch .LBB79_11
.LBB79_27:
	v_mov_b64_e32 v[4:5], 0
.LBB79_28:
	s_load_b64 s[4:5], s[0:1], 0x68
	s_and_b32 s2, s7, s2
	s_delay_alu instid0(SALU_CYCLE_1)
	s_and_saveexec_b32 s3, s2
	s_cbranch_execz .LBB79_48
; %bb.29:
	s_load_b64 s[2:3], s[0:1], 0x70
	v_mad_u32 v6, s10, s22, v6
	s_cmp_neq_f32 s24, 0
	s_wait_xcnt 0x0
	s_mov_b32 s0, exec_lo
	s_cselect_b32 s7, -1, 0
	s_cmp_lg_u32 s20, 1
	s_cselect_b32 s1, -1, 0
	s_delay_alu instid0(VALU_DEP_1) | instskip(SKIP_1) | instid1(VALU_DEP_1)
	v_ashrrev_i32_e32 v7, 31, v6
	s_wait_kmcnt 0x0
	v_mul_u64_e32 v[8:9], s[2:3], v[6:7]
	v_lshl_add_u64 v[6:7], v[6:7], 2, s[4:5]
	s_delay_alu instid0(VALU_DEP_2)
	v_lshl_add_u64 v[8:9], v[8:9], 2, s[4:5]
	v_cmpx_gt_i32_e64 s11, v2
	s_cbranch_execz .LBB79_41
; %bb.30:
	v_ashrrev_i32_e32 v3, 31, v2
	s_and_b32 vcc_lo, exec_lo, s7
	s_cbranch_vccz .LBB79_36
; %bb.31:
	s_and_b32 vcc_lo, exec_lo, s1
	s_mov_b32 s4, -1
	s_cbranch_vccz .LBB79_33
; %bb.32:
	v_lshl_add_u64 v[10:11], v[2:3], 2, v[8:9]
	v_mul_f32_e32 v12, s6, v4
	s_mov_b32 s4, 0
	global_load_b32 v1, v[10:11], off
	s_wait_loadcnt 0x0
	v_fmac_f32_e32 v12, s24, v1
	global_store_b32 v[10:11], v12, off
.LBB79_33:
	s_and_not1_b32 vcc_lo, exec_lo, s4
	s_cbranch_vccnz .LBB79_35
; %bb.34:
	s_wait_xcnt 0x0
	v_mul_u64_e32 v[10:11], s[2:3], v[2:3]
	v_mul_f32_e32 v12, s6, v4
	s_delay_alu instid0(VALU_DEP_2)
	v_lshl_add_u64 v[10:11], v[10:11], 2, v[6:7]
	global_load_b32 v1, v[10:11], off
	s_wait_loadcnt 0x0
	v_fmac_f32_e32 v12, s24, v1
	global_store_b32 v[10:11], v12, off
.LBB79_35:
	s_cbranch_execz .LBB79_37
	s_branch .LBB79_41
.LBB79_36:
.LBB79_37:
	v_mul_f32_e32 v1, s6, v4
	s_and_b32 vcc_lo, exec_lo, s1
	s_mov_b32 s4, -1
	s_cbranch_vccz .LBB79_39
; %bb.38:
	s_wait_xcnt 0x0
	v_lshl_add_u64 v[10:11], v[2:3], 2, v[8:9]
	s_mov_b32 s4, 0
	global_store_b32 v[10:11], v1, off
.LBB79_39:
	s_and_not1_b32 vcc_lo, exec_lo, s4
	s_cbranch_vccnz .LBB79_41
; %bb.40:
	v_mul_u64_e32 v[2:3], s[2:3], v[2:3]
	s_delay_alu instid0(VALU_DEP_1)
	v_lshl_add_u64 v[2:3], v[2:3], 2, v[6:7]
	global_store_b32 v[2:3], v1, off
.LBB79_41:
	s_wait_xcnt 0x0
	s_or_b32 exec_lo, exec_lo, s0
	v_cmp_gt_i32_e32 vcc_lo, s11, v0
	s_and_b32 exec_lo, exec_lo, vcc_lo
	s_cbranch_execz .LBB79_48
; %bb.42:
	v_cndmask_b32_e64 v2, 0, 1, s1
	v_ashrrev_i32_e32 v1, 31, v0
	s_and_not1_b32 vcc_lo, exec_lo, s7
	s_delay_alu instid0(VALU_DEP_2)
	v_cmp_ne_u32_e64 s0, 1, v2
	s_cbranch_vccnz .LBB79_49
; %bb.43:
	s_and_b32 vcc_lo, exec_lo, s0
	s_mov_b32 s0, -1
	s_cbranch_vccnz .LBB79_45
; %bb.44:
	v_lshl_add_u64 v[2:3], v[0:1], 2, v[8:9]
	v_mul_f32_e32 v10, s6, v5
	s_mov_b32 s0, 0
	global_load_b32 v4, v[2:3], off
	s_wait_loadcnt 0x0
	v_fmac_f32_e32 v10, s24, v4
	global_store_b32 v[2:3], v10, off
.LBB79_45:
	s_and_not1_b32 vcc_lo, exec_lo, s0
	s_cbranch_vccnz .LBB79_47
; %bb.46:
	s_wait_xcnt 0x0
	v_mul_u64_e32 v[2:3], s[2:3], v[0:1]
	v_mul_f32_e32 v10, s6, v5
	s_delay_alu instid0(VALU_DEP_2)
	v_lshl_add_u64 v[2:3], v[2:3], 2, v[6:7]
	global_load_b32 v4, v[2:3], off
	s_wait_loadcnt 0x0
	v_fmac_f32_e32 v10, s24, v4
	global_store_b32 v[2:3], v10, off
.LBB79_47:
	s_cbranch_execz .LBB79_50
.LBB79_48:
	s_endpgm
.LBB79_49:
.LBB79_50:
	s_wait_xcnt 0x0
	v_mul_f32_e32 v2, s6, v5
	s_and_not1_b32 vcc_lo, exec_lo, s1
	s_mov_b32 s0, -1
	s_cbranch_vccnz .LBB79_52
; %bb.51:
	v_lshl_add_u64 v[4:5], v[0:1], 2, v[8:9]
	s_mov_b32 s0, 0
	global_store_b32 v[4:5], v2, off
.LBB79_52:
	s_and_not1_b32 vcc_lo, exec_lo, s0
	s_cbranch_vccnz .LBB79_48
; %bb.53:
	v_mul_u64_e32 v[0:1], s[2:3], v[0:1]
	s_delay_alu instid0(VALU_DEP_1)
	v_lshl_add_u64 v[0:1], v[0:1], 2, v[6:7]
	global_store_b32 v[0:1], v2, off
	s_endpgm
	.section	.rodata,"a",@progbits
	.p2align	6, 0x0
	.amdhsa_kernel _ZN9rocsparseL31bsrmm_large_blockdim_kernel_extILj32ELj32ELj2EliaaffEEvb20rocsparse_direction_T3_S2_llNS_24const_host_device_scalarIT7_EEPKT2_PKS2_PKT4_S2_PKT5_llS5_PT6_ll16rocsparse_order_21rocsparse_index_base_b
		.amdhsa_group_segment_fixed_size 12288
		.amdhsa_private_segment_fixed_size 0
		.amdhsa_kernarg_size 140
		.amdhsa_user_sgpr_count 2
		.amdhsa_user_sgpr_dispatch_ptr 0
		.amdhsa_user_sgpr_queue_ptr 0
		.amdhsa_user_sgpr_kernarg_segment_ptr 1
		.amdhsa_user_sgpr_dispatch_id 0
		.amdhsa_user_sgpr_kernarg_preload_length 0
		.amdhsa_user_sgpr_kernarg_preload_offset 0
		.amdhsa_user_sgpr_private_segment_size 0
		.amdhsa_wavefront_size32 1
		.amdhsa_uses_dynamic_stack 0
		.amdhsa_enable_private_segment 0
		.amdhsa_system_sgpr_workgroup_id_x 1
		.amdhsa_system_sgpr_workgroup_id_y 1
		.amdhsa_system_sgpr_workgroup_id_z 0
		.amdhsa_system_sgpr_workgroup_info 0
		.amdhsa_system_vgpr_workitem_id 1
		.amdhsa_next_free_vgpr 26
		.amdhsa_next_free_sgpr 32
		.amdhsa_named_barrier_count 0
		.amdhsa_reserve_vcc 1
		.amdhsa_float_round_mode_32 0
		.amdhsa_float_round_mode_16_64 0
		.amdhsa_float_denorm_mode_32 3
		.amdhsa_float_denorm_mode_16_64 3
		.amdhsa_fp16_overflow 0
		.amdhsa_memory_ordered 1
		.amdhsa_forward_progress 1
		.amdhsa_inst_pref_size 14
		.amdhsa_round_robin_scheduling 0
		.amdhsa_exception_fp_ieee_invalid_op 0
		.amdhsa_exception_fp_denorm_src 0
		.amdhsa_exception_fp_ieee_div_zero 0
		.amdhsa_exception_fp_ieee_overflow 0
		.amdhsa_exception_fp_ieee_underflow 0
		.amdhsa_exception_fp_ieee_inexact 0
		.amdhsa_exception_int_div_zero 0
	.end_amdhsa_kernel
	.section	.text._ZN9rocsparseL31bsrmm_large_blockdim_kernel_extILj32ELj32ELj2EliaaffEEvb20rocsparse_direction_T3_S2_llNS_24const_host_device_scalarIT7_EEPKT2_PKS2_PKT4_S2_PKT5_llS5_PT6_ll16rocsparse_order_21rocsparse_index_base_b,"axG",@progbits,_ZN9rocsparseL31bsrmm_large_blockdim_kernel_extILj32ELj32ELj2EliaaffEEvb20rocsparse_direction_T3_S2_llNS_24const_host_device_scalarIT7_EEPKT2_PKS2_PKT4_S2_PKT5_llS5_PT6_ll16rocsparse_order_21rocsparse_index_base_b,comdat
.Lfunc_end79:
	.size	_ZN9rocsparseL31bsrmm_large_blockdim_kernel_extILj32ELj32ELj2EliaaffEEvb20rocsparse_direction_T3_S2_llNS_24const_host_device_scalarIT7_EEPKT2_PKS2_PKT4_S2_PKT5_llS5_PT6_ll16rocsparse_order_21rocsparse_index_base_b, .Lfunc_end79-_ZN9rocsparseL31bsrmm_large_blockdim_kernel_extILj32ELj32ELj2EliaaffEEvb20rocsparse_direction_T3_S2_llNS_24const_host_device_scalarIT7_EEPKT2_PKS2_PKT4_S2_PKT5_llS5_PT6_ll16rocsparse_order_21rocsparse_index_base_b
                                        ; -- End function
	.set _ZN9rocsparseL31bsrmm_large_blockdim_kernel_extILj32ELj32ELj2EliaaffEEvb20rocsparse_direction_T3_S2_llNS_24const_host_device_scalarIT7_EEPKT2_PKS2_PKT4_S2_PKT5_llS5_PT6_ll16rocsparse_order_21rocsparse_index_base_b.num_vgpr, 26
	.set _ZN9rocsparseL31bsrmm_large_blockdim_kernel_extILj32ELj32ELj2EliaaffEEvb20rocsparse_direction_T3_S2_llNS_24const_host_device_scalarIT7_EEPKT2_PKS2_PKT4_S2_PKT5_llS5_PT6_ll16rocsparse_order_21rocsparse_index_base_b.num_agpr, 0
	.set _ZN9rocsparseL31bsrmm_large_blockdim_kernel_extILj32ELj32ELj2EliaaffEEvb20rocsparse_direction_T3_S2_llNS_24const_host_device_scalarIT7_EEPKT2_PKS2_PKT4_S2_PKT5_llS5_PT6_ll16rocsparse_order_21rocsparse_index_base_b.numbered_sgpr, 32
	.set _ZN9rocsparseL31bsrmm_large_blockdim_kernel_extILj32ELj32ELj2EliaaffEEvb20rocsparse_direction_T3_S2_llNS_24const_host_device_scalarIT7_EEPKT2_PKS2_PKT4_S2_PKT5_llS5_PT6_ll16rocsparse_order_21rocsparse_index_base_b.num_named_barrier, 0
	.set _ZN9rocsparseL31bsrmm_large_blockdim_kernel_extILj32ELj32ELj2EliaaffEEvb20rocsparse_direction_T3_S2_llNS_24const_host_device_scalarIT7_EEPKT2_PKS2_PKT4_S2_PKT5_llS5_PT6_ll16rocsparse_order_21rocsparse_index_base_b.private_seg_size, 0
	.set _ZN9rocsparseL31bsrmm_large_blockdim_kernel_extILj32ELj32ELj2EliaaffEEvb20rocsparse_direction_T3_S2_llNS_24const_host_device_scalarIT7_EEPKT2_PKS2_PKT4_S2_PKT5_llS5_PT6_ll16rocsparse_order_21rocsparse_index_base_b.uses_vcc, 1
	.set _ZN9rocsparseL31bsrmm_large_blockdim_kernel_extILj32ELj32ELj2EliaaffEEvb20rocsparse_direction_T3_S2_llNS_24const_host_device_scalarIT7_EEPKT2_PKS2_PKT4_S2_PKT5_llS5_PT6_ll16rocsparse_order_21rocsparse_index_base_b.uses_flat_scratch, 0
	.set _ZN9rocsparseL31bsrmm_large_blockdim_kernel_extILj32ELj32ELj2EliaaffEEvb20rocsparse_direction_T3_S2_llNS_24const_host_device_scalarIT7_EEPKT2_PKS2_PKT4_S2_PKT5_llS5_PT6_ll16rocsparse_order_21rocsparse_index_base_b.has_dyn_sized_stack, 0
	.set _ZN9rocsparseL31bsrmm_large_blockdim_kernel_extILj32ELj32ELj2EliaaffEEvb20rocsparse_direction_T3_S2_llNS_24const_host_device_scalarIT7_EEPKT2_PKS2_PKT4_S2_PKT5_llS5_PT6_ll16rocsparse_order_21rocsparse_index_base_b.has_recursion, 0
	.set _ZN9rocsparseL31bsrmm_large_blockdim_kernel_extILj32ELj32ELj2EliaaffEEvb20rocsparse_direction_T3_S2_llNS_24const_host_device_scalarIT7_EEPKT2_PKS2_PKT4_S2_PKT5_llS5_PT6_ll16rocsparse_order_21rocsparse_index_base_b.has_indirect_call, 0
	.section	.AMDGPU.csdata,"",@progbits
; Kernel info:
; codeLenInByte = 1724
; TotalNumSgprs: 34
; NumVgprs: 26
; ScratchSize: 0
; MemoryBound: 0
; FloatMode: 240
; IeeeMode: 1
; LDSByteSize: 12288 bytes/workgroup (compile time only)
; SGPRBlocks: 0
; VGPRBlocks: 1
; NumSGPRsForWavesPerEU: 34
; NumVGPRsForWavesPerEU: 26
; NamedBarCnt: 0
; Occupancy: 16
; WaveLimiterHint : 1
; COMPUTE_PGM_RSRC2:SCRATCH_EN: 0
; COMPUTE_PGM_RSRC2:USER_SGPR: 2
; COMPUTE_PGM_RSRC2:TRAP_HANDLER: 0
; COMPUTE_PGM_RSRC2:TGID_X_EN: 1
; COMPUTE_PGM_RSRC2:TGID_Y_EN: 1
; COMPUTE_PGM_RSRC2:TGID_Z_EN: 0
; COMPUTE_PGM_RSRC2:TIDIG_COMP_CNT: 1
	.section	.text._ZN9rocsparseL31bsrmm_large_blockdim_kernel_extILj8ELj8ELj2EllaaffEEvb20rocsparse_direction_T3_S2_llNS_24const_host_device_scalarIT7_EEPKT2_PKS2_PKT4_S2_PKT5_llS5_PT6_ll16rocsparse_order_21rocsparse_index_base_b,"axG",@progbits,_ZN9rocsparseL31bsrmm_large_blockdim_kernel_extILj8ELj8ELj2EllaaffEEvb20rocsparse_direction_T3_S2_llNS_24const_host_device_scalarIT7_EEPKT2_PKS2_PKT4_S2_PKT5_llS5_PT6_ll16rocsparse_order_21rocsparse_index_base_b,comdat
	.globl	_ZN9rocsparseL31bsrmm_large_blockdim_kernel_extILj8ELj8ELj2EllaaffEEvb20rocsparse_direction_T3_S2_llNS_24const_host_device_scalarIT7_EEPKT2_PKS2_PKT4_S2_PKT5_llS5_PT6_ll16rocsparse_order_21rocsparse_index_base_b ; -- Begin function _ZN9rocsparseL31bsrmm_large_blockdim_kernel_extILj8ELj8ELj2EllaaffEEvb20rocsparse_direction_T3_S2_llNS_24const_host_device_scalarIT7_EEPKT2_PKS2_PKT4_S2_PKT5_llS5_PT6_ll16rocsparse_order_21rocsparse_index_base_b
	.p2align	8
	.type	_ZN9rocsparseL31bsrmm_large_blockdim_kernel_extILj8ELj8ELj2EllaaffEEvb20rocsparse_direction_T3_S2_llNS_24const_host_device_scalarIT7_EEPKT2_PKS2_PKT4_S2_PKT5_llS5_PT6_ll16rocsparse_order_21rocsparse_index_base_b,@function
_ZN9rocsparseL31bsrmm_large_blockdim_kernel_extILj8ELj8ELj2EllaaffEEvb20rocsparse_direction_T3_S2_llNS_24const_host_device_scalarIT7_EEPKT2_PKS2_PKT4_S2_PKT5_llS5_PT6_ll16rocsparse_order_21rocsparse_index_base_b: ; @_ZN9rocsparseL31bsrmm_large_blockdim_kernel_extILj8ELj8ELj2EllaaffEEvb20rocsparse_direction_T3_S2_llNS_24const_host_device_scalarIT7_EEPKT2_PKS2_PKT4_S2_PKT5_llS5_PT6_ll16rocsparse_order_21rocsparse_index_base_b
; %bb.0:
	s_clause 0x2
	s_load_b96 s[16:18], s[0:1], 0x88
	s_load_b64 s[20:21], s[0:1], 0x28
	s_load_b64 s[22:23], s[0:1], 0x68
	s_wait_kmcnt 0x0
	s_bitcmp1_b32 s18, 0
	s_cselect_b32 s2, -1, 0
	s_delay_alu instid0(SALU_CYCLE_1)
	s_and_b32 vcc_lo, exec_lo, s2
	s_xor_b32 s2, s2, -1
	s_cbranch_vccnz .LBB80_2
; %bb.1:
	s_load_b32 s20, s[20:21], 0x0
.LBB80_2:
	s_and_not1_b32 vcc_lo, exec_lo, s2
	s_cbranch_vccnz .LBB80_4
; %bb.3:
	s_load_b32 s22, s[22:23], 0x0
.LBB80_4:
	s_wait_kmcnt 0x0
	s_cmp_eq_f32 s20, 0
	s_cselect_b32 s2, -1, 0
	s_cmp_eq_f32 s22, 1.0
	s_cselect_b32 s3, -1, 0
	s_delay_alu instid0(SALU_CYCLE_1) | instskip(NEXT) | instid1(SALU_CYCLE_1)
	s_and_b32 s2, s2, s3
	s_and_b32 vcc_lo, exec_lo, s2
	s_cbranch_vccnz .LBB80_48
; %bb.5:
	s_clause 0x1
	s_load_b128 s[4:7], s[0:1], 0x8
	s_load_b64 s[2:3], s[0:1], 0x30
	s_bfe_u32 s8, ttmp6, 0x4000c
	s_and_b32 s9, ttmp6, 15
	s_add_co_i32 s8, s8, 1
	s_mov_b64 s[24:25], 0
	s_mul_i32 s10, ttmp9, s8
	s_getreg_b32 s8, hwreg(HW_REG_IB_STS2, 6, 4)
	s_add_co_i32 s9, s9, s10
	s_cmp_eq_u32 s8, 0
	s_mov_b64 s[26:27], 0
	s_cselect_b32 s18, ttmp9, s9
	s_delay_alu instid0(SALU_CYCLE_1)
	s_ashr_i32 s19, s18, 31
	s_wait_kmcnt 0x0
	v_cmp_le_i64_e64 s9, s[4:5], s[18:19]
	v_cmp_gt_i64_e64 s21, s[4:5], s[18:19]
	s_and_b32 vcc_lo, exec_lo, s9
	s_cbranch_vccnz .LBB80_7
; %bb.6:
	s_lshl_b64 s[4:5], s[18:19], 3
	s_mov_b32 s11, 0
	s_add_nc_u64 s[4:5], s[2:3], s[4:5]
	s_mov_b32 s10, s17
	s_load_b64 s[4:5], s[4:5], 0x0
	s_wait_kmcnt 0x0
	s_sub_nc_u64 s[26:27], s[4:5], s[10:11]
.LBB80_7:
	s_and_not1_b32 vcc_lo, exec_lo, s21
	s_cbranch_vccnz .LBB80_9
; %bb.8:
	s_lshl_b64 s[4:5], s[18:19], 3
	s_delay_alu instid0(SALU_CYCLE_1)
	s_add_nc_u64 s[2:3], s[2:3], s[4:5]
	s_mov_b32 s5, 0
	s_load_b64 s[2:3], s[2:3], 0x8
	s_mov_b32 s4, s17
	s_wait_kmcnt 0x0
	s_sub_nc_u64 s[24:25], s[2:3], s[4:5]
.LBB80_9:
	s_bfe_u32 s2, ttmp6, 0x40010
	s_clause 0x1
	s_load_b64 s[28:29], s[0:1], 0x48
	s_load_b64 s[30:31], s[0:1], 0x70
	s_add_co_i32 s2, s2, 1
	s_bfe_u32 s3, ttmp6, 0x40004
	s_mul_i32 s2, ttmp7, s2
	v_bfe_u32 v12, v0, 10, 10
	s_add_co_i32 s3, s3, s2
	s_cmp_eq_u32 s8, 0
	v_and_b32_e32 v6, 0x3ff, v0
	s_cselect_b32 s2, ttmp7, s3
	v_cmp_ge_i64_e64 s5, s[26:27], s[24:25]
	v_lshl_add_u32 v2, s2, 4, v12
	v_mov_b32_e32 v3, 0
	s_mov_b32 s35, 0
	s_delay_alu instid0(VALU_DEP_1)
	v_dual_mov_b32 v7, v3 :: v_dual_add_nc_u32 v0, 8, v2
	v_mov_b32_e32 v1, v3
	v_cmp_gt_i64_e64 s3, s[6:7], v[2:3]
	s_and_b32 vcc_lo, exec_lo, s5
	s_wait_kmcnt 0x0
	v_cmp_gt_i64_e64 s2, s[28:29], v[6:7]
	v_cmp_gt_i64_e64 s4, s[6:7], v[0:1]
	s_cbranch_vccnz .LBB80_27
; %bb.10:
	s_clause 0x2
	s_load_b128 s[8:11], s[0:1], 0x38
	s_load_b128 s[12:15], s[0:1], 0x50
	s_load_b64 s[36:37], s[0:1], 0x0
	v_dual_mov_b32 v13, v3 :: v_dual_lshlrev_b32 v19, 5, v6
	v_lshl_add_u32 v18, v12, 2, 0x200
	v_dual_lshlrev_b32 v20, 5, v12 :: v_dual_lshlrev_b32 v23, 2, v6
	s_delay_alu instid0(VALU_DEP_3) | instskip(SKIP_2) | instid1(VALU_DEP_4)
	v_cmp_gt_i64_e32 vcc_lo, s[28:29], v[12:13]
	v_cmp_gt_i64_e64 s23, s[28:29], 0
	v_mov_b64_e32 v[4:5], 0
	v_dual_add_nc_u32 v24, v18, v19 :: v_dual_add_nc_u32 v23, v23, v20
	s_mov_b32 s34, s17
	s_and_b32 s19, s2, vcc_lo
	s_wait_kmcnt 0x0
	v_mad_nc_u64_u32 v[14:15], s28, v12, s[10:11]
	v_mad_nc_u64_u32 v[16:17], s28, v6, s[10:11]
	v_mul_u64_e32 v[8:9], s[14:15], v[2:3]
	v_mul_u64_e32 v[10:11], s[14:15], v[0:1]
	s_bitcmp1_b32 s36, 0
	s_mul_u64 s[10:11], s[28:29], s[28:29]
	s_cselect_b32 s5, -1, 0
	s_cmp_eq_u32 s37, 0
	s_cselect_b32 vcc_lo, -1, 0
	s_and_b32 s17, s3, s23
	s_delay_alu instid0(VALU_DEP_4) | instskip(NEXT) | instid1(VALU_DEP_4)
	v_mad_u32 v15, s29, v12, v15
	v_mad_u32 v17, s29, v6, v17
	s_and_b32 s23, s4, s23
	s_delay_alu instid0(VALU_DEP_2) | instskip(NEXT) | instid1(VALU_DEP_2)
	v_add_nc_u64_e32 v[14:15], v[14:15], v[6:7]
	v_add_nc_u64_e32 v[16:17], v[16:17], v[12:13]
	;; [unrolled: 1-line block ×3, first 2 shown]
	v_add_nc_u32_e32 v21, 0x200, v19
	s_delay_alu instid0(VALU_DEP_3) | instskip(NEXT) | instid1(VALU_DEP_4)
	v_dual_cndmask_b32 v15, v15, v17 :: v_dual_add_nc_u32 v22, 0x100, v20
	v_cndmask_b32_e32 v14, v14, v16, vcc_lo
	s_branch .LBB80_13
.LBB80_11:                              ;   in Loop: Header=BB80_13 Depth=1
	s_or_b32 exec_lo, exec_lo, s38
.LBB80_12:                              ;   in Loop: Header=BB80_13 Depth=1
	s_delay_alu instid0(SALU_CYCLE_1) | instskip(SKIP_1) | instid1(SALU_CYCLE_1)
	s_or_b32 exec_lo, exec_lo, s33
	s_add_nc_u64 s[26:27], s[26:27], 1
	v_cmp_ge_i64_e64 s33, s[26:27], s[24:25]
	s_barrier_signal -1
	s_barrier_wait -1
	s_and_b32 vcc_lo, exec_lo, s33
	s_cbranch_vccnz .LBB80_28
.LBB80_13:                              ; =>This Loop Header: Depth=1
                                        ;     Child Loop BB80_23 Depth 2
                                        ;     Child Loop BB80_26 Depth 2
	s_and_saveexec_b32 s33, s2
	s_cbranch_execz .LBB80_18
; %bb.14:                               ;   in Loop: Header=BB80_13 Depth=1
	s_lshl_b64 s[36:37], s[26:27], 3
	s_delay_alu instid0(SALU_CYCLE_1) | instskip(SKIP_3) | instid1(SALU_CYCLE_1)
	s_add_nc_u64 s[36:37], s[8:9], s[36:37]
	s_load_b64 s[36:37], s[36:37], 0x0
	s_wait_kmcnt 0x0
	s_sub_nc_u64 s[36:37], s[36:37], s[34:35]
	v_mad_nc_u64_u32 v[26:27], s36, s28, v[6:7]
	s_mul_i32 s37, s37, s28
	s_mul_i32 s38, s36, s29
	s_delay_alu instid0(SALU_CYCLE_1) | instskip(NEXT) | instid1(VALU_DEP_1)
	s_add_co_i32 s38, s38, s37
	v_mad_nc_u64_u32 v[16:17], v26, s14, s[12:13]
	s_delay_alu instid0(VALU_DEP_2) | instskip(NEXT) | instid1(VALU_DEP_1)
	v_add_nc_u32_e32 v18, s38, v27
	v_mad_u32 v17, v18, s14, v17
	v_mad_nc_u64_u32 v[18:19], s36, s28, v[12:13]
	s_delay_alu instid0(VALU_DEP_2) | instskip(NEXT) | instid1(VALU_DEP_2)
	v_mad_u32 v17, v26, s15, v17
	v_add_nc_u32_e32 v19, s38, v19
	s_and_saveexec_b32 s36, s3
	s_cbranch_execz .LBB80_16
; %bb.15:                               ;   in Loop: Header=BB80_13 Depth=1
	s_delay_alu instid0(VALU_DEP_2) | instskip(NEXT) | instid1(VALU_DEP_2)
	v_add_nc_u64_e32 v[26:27], v[16:17], v[2:3]
	v_add_nc_u64_e32 v[28:29], v[18:19], v[8:9]
	s_delay_alu instid0(VALU_DEP_1)
	v_dual_cndmask_b32 v27, v27, v29, s5 :: v_dual_cndmask_b32 v26, v26, v28, s5
	global_load_i8 v25, v[26:27], off
	s_wait_loadcnt 0x0
	v_cvt_f32_i32_e32 v25, v25
	ds_store_b32 v23, v25
.LBB80_16:                              ;   in Loop: Header=BB80_13 Depth=1
	s_or_b32 exec_lo, exec_lo, s36
	s_delay_alu instid0(SALU_CYCLE_1)
	s_and_b32 exec_lo, exec_lo, s4
	s_cbranch_execz .LBB80_18
; %bb.17:                               ;   in Loop: Header=BB80_13 Depth=1
	s_delay_alu instid0(VALU_DEP_3) | instskip(NEXT) | instid1(VALU_DEP_3)
	v_add_nc_u64_e32 v[18:19], v[18:19], v[10:11]
	v_add_nc_u64_e32 v[16:17], v[16:17], v[0:1]
	s_delay_alu instid0(VALU_DEP_1)
	v_dual_cndmask_b32 v17, v17, v19, s5 :: v_dual_cndmask_b32 v16, v16, v18, s5
	global_load_i8 v16, v[16:17], off
	s_wait_loadcnt 0x0
	v_cvt_f32_i32_e32 v16, v16
	ds_store_b32 v23, v16 offset:256
.LBB80_18:                              ;   in Loop: Header=BB80_13 Depth=1
	s_or_b32 exec_lo, exec_lo, s33
	s_and_saveexec_b32 s33, s19
	s_cbranch_execz .LBB80_20
; %bb.19:                               ;   in Loop: Header=BB80_13 Depth=1
	v_mad_nc_u64_u32 v[16:17], s10, s26, v[14:15]
	s_mul_i32 s36, s11, s26
	s_mul_i32 s37, s10, s27
	s_delay_alu instid0(VALU_DEP_1) | instid1(SALU_CYCLE_1)
	v_add3_u32 v17, s37, s36, v17
	global_load_i8 v16, v[16:17], off
	s_wait_loadcnt 0x0
	v_cvt_f32_i32_e32 v16, v16
	ds_store_b32 v24, v16
.LBB80_20:                              ;   in Loop: Header=BB80_13 Depth=1
	s_or_b32 exec_lo, exec_lo, s33
	s_wait_dscnt 0x0
	s_barrier_signal -1
	s_barrier_wait -1
	s_and_saveexec_b32 s33, s2
	s_cbranch_execz .LBB80_12
; %bb.21:                               ;   in Loop: Header=BB80_13 Depth=1
	s_and_saveexec_b32 s38, s17
	s_cbranch_execz .LBB80_24
; %bb.22:                               ;   in Loop: Header=BB80_13 Depth=1
	v_dual_mov_b32 v16, v21 :: v_dual_mov_b32 v17, v20
	s_mov_b64 s[36:37], s[28:29]
.LBB80_23:                              ;   Parent Loop BB80_13 Depth=1
                                        ; =>  This Inner Loop Header: Depth=2
	ds_load_b32 v18, v16
	ds_load_b32 v19, v17
	v_dual_add_nc_u32 v17, 4, v17 :: v_dual_add_nc_u32 v16, 4, v16
	s_add_nc_u64 s[36:37], s[36:37], -1
	s_delay_alu instid0(SALU_CYCLE_1)
	s_cmp_lg_u64 s[36:37], 0
	s_wait_dscnt 0x0
	v_fma_f32 v4, v18, v19, v4
	s_cbranch_scc1 .LBB80_23
.LBB80_24:                              ;   in Loop: Header=BB80_13 Depth=1
	s_or_b32 exec_lo, exec_lo, s38
	s_and_saveexec_b32 s38, s23
	s_cbranch_execz .LBB80_11
; %bb.25:                               ;   in Loop: Header=BB80_13 Depth=1
	v_dual_mov_b32 v16, v21 :: v_dual_mov_b32 v17, v22
	s_mov_b64 s[36:37], s[28:29]
.LBB80_26:                              ;   Parent Loop BB80_13 Depth=1
                                        ; =>  This Inner Loop Header: Depth=2
	ds_load_b32 v18, v16
	ds_load_b32 v19, v17
	v_dual_add_nc_u32 v17, 4, v17 :: v_dual_add_nc_u32 v16, 4, v16
	s_add_nc_u64 s[36:37], s[36:37], -1
	s_delay_alu instid0(SALU_CYCLE_1)
	s_cmp_lg_u64 s[36:37], 0
	s_wait_dscnt 0x0
	v_fma_f32 v5, v18, v19, v5
	s_cbranch_scc1 .LBB80_26
	s_branch .LBB80_11
.LBB80_27:
	v_mov_b64_e32 v[4:5], 0
.LBB80_28:
	s_and_b32 s2, s21, s2
	s_delay_alu instid0(SALU_CYCLE_1)
	s_and_saveexec_b32 s3, s2
	s_cbranch_execz .LBB80_48
; %bb.29:
	v_mad_nc_u64_u32 v[6:7], s28, s18, v[6:7]
	s_load_b64 s[2:3], s[0:1], 0x78
	s_cmp_neq_f32 s22, 0
	s_wait_xcnt 0x0
	s_mov_b32 s0, exec_lo
	s_cselect_b32 s4, -1, 0
	s_cmp_lg_u32 s16, 1
	s_cselect_b32 s1, -1, 0
	s_delay_alu instid0(VALU_DEP_1) | instskip(SKIP_1) | instid1(VALU_DEP_1)
	v_mad_u32 v7, s29, s18, v7
	s_wait_kmcnt 0x0
	v_mul_u64_e32 v[8:9], s[2:3], v[6:7]
	v_lshl_add_u64 v[6:7], v[6:7], 2, s[30:31]
	s_delay_alu instid0(VALU_DEP_2)
	v_lshl_add_u64 v[8:9], v[8:9], 2, s[30:31]
	v_cmpx_gt_i64_e64 s[6:7], v[2:3]
	s_cbranch_execz .LBB80_41
; %bb.30:
	s_and_b32 vcc_lo, exec_lo, s4
	s_cbranch_vccz .LBB80_36
; %bb.31:
	s_and_b32 vcc_lo, exec_lo, s1
	s_mov_b32 s5, -1
	s_cbranch_vccz .LBB80_33
; %bb.32:
	v_lshl_add_u64 v[10:11], v[2:3], 2, v[8:9]
	v_mul_f32_e32 v13, s20, v4
	s_mov_b32 s5, 0
	global_load_b32 v12, v[10:11], off
	s_wait_loadcnt 0x0
	v_fmac_f32_e32 v13, s22, v12
	global_store_b32 v[10:11], v13, off
.LBB80_33:
	s_and_not1_b32 vcc_lo, exec_lo, s5
	s_cbranch_vccnz .LBB80_35
; %bb.34:
	s_wait_xcnt 0x0
	v_mul_u64_e32 v[10:11], s[2:3], v[2:3]
	v_mul_f32_e32 v13, s20, v4
	s_delay_alu instid0(VALU_DEP_2)
	v_lshl_add_u64 v[10:11], v[10:11], 2, v[6:7]
	global_load_b32 v12, v[10:11], off
	s_wait_loadcnt 0x0
	v_fmac_f32_e32 v13, s22, v12
	global_store_b32 v[10:11], v13, off
.LBB80_35:
	s_cbranch_execz .LBB80_37
	s_branch .LBB80_41
.LBB80_36:
.LBB80_37:
	v_mul_f32_e32 v4, s20, v4
	s_and_b32 vcc_lo, exec_lo, s1
	s_mov_b32 s5, -1
	s_cbranch_vccz .LBB80_39
; %bb.38:
	s_wait_xcnt 0x0
	v_lshl_add_u64 v[10:11], v[2:3], 2, v[8:9]
	s_mov_b32 s5, 0
	global_store_b32 v[10:11], v4, off
.LBB80_39:
	s_and_not1_b32 vcc_lo, exec_lo, s5
	s_cbranch_vccnz .LBB80_41
; %bb.40:
	v_mul_u64_e32 v[2:3], s[2:3], v[2:3]
	s_delay_alu instid0(VALU_DEP_1)
	v_lshl_add_u64 v[2:3], v[2:3], 2, v[6:7]
	global_store_b32 v[2:3], v4, off
.LBB80_41:
	s_wait_xcnt 0x0
	s_or_b32 exec_lo, exec_lo, s0
	v_cmp_gt_i64_e32 vcc_lo, s[6:7], v[0:1]
	s_and_b32 exec_lo, exec_lo, vcc_lo
	s_cbranch_execz .LBB80_48
; %bb.42:
	v_cndmask_b32_e64 v2, 0, 1, s1
	s_and_not1_b32 vcc_lo, exec_lo, s4
	s_delay_alu instid0(VALU_DEP_1)
	v_cmp_ne_u32_e64 s0, 1, v2
	s_cbranch_vccnz .LBB80_49
; %bb.43:
	s_and_b32 vcc_lo, exec_lo, s0
	s_mov_b32 s0, -1
	s_cbranch_vccnz .LBB80_45
; %bb.44:
	v_lshl_add_u64 v[2:3], v[0:1], 2, v[8:9]
	v_mul_f32_e32 v10, s20, v5
	s_mov_b32 s0, 0
	global_load_b32 v4, v[2:3], off
	s_wait_loadcnt 0x0
	v_fmac_f32_e32 v10, s22, v4
	global_store_b32 v[2:3], v10, off
.LBB80_45:
	s_and_not1_b32 vcc_lo, exec_lo, s0
	s_cbranch_vccnz .LBB80_47
; %bb.46:
	s_wait_xcnt 0x0
	v_mul_u64_e32 v[2:3], s[2:3], v[0:1]
	v_mul_f32_e32 v10, s20, v5
	s_delay_alu instid0(VALU_DEP_2)
	v_lshl_add_u64 v[2:3], v[2:3], 2, v[6:7]
	global_load_b32 v4, v[2:3], off
	s_wait_loadcnt 0x0
	v_fmac_f32_e32 v10, s22, v4
	global_store_b32 v[2:3], v10, off
.LBB80_47:
	s_cbranch_execz .LBB80_50
.LBB80_48:
	s_endpgm
.LBB80_49:
.LBB80_50:
	s_wait_xcnt 0x0
	v_mul_f32_e32 v2, s20, v5
	s_and_not1_b32 vcc_lo, exec_lo, s1
	s_mov_b32 s0, -1
	s_cbranch_vccnz .LBB80_52
; %bb.51:
	v_lshl_add_u64 v[4:5], v[0:1], 2, v[8:9]
	s_mov_b32 s0, 0
	global_store_b32 v[4:5], v2, off
.LBB80_52:
	s_and_not1_b32 vcc_lo, exec_lo, s0
	s_cbranch_vccnz .LBB80_48
; %bb.53:
	v_mul_u64_e32 v[0:1], s[2:3], v[0:1]
	s_delay_alu instid0(VALU_DEP_1)
	v_lshl_add_u64 v[0:1], v[0:1], 2, v[6:7]
	global_store_b32 v[0:1], v2, off
	s_endpgm
	.section	.rodata,"a",@progbits
	.p2align	6, 0x0
	.amdhsa_kernel _ZN9rocsparseL31bsrmm_large_blockdim_kernel_extILj8ELj8ELj2EllaaffEEvb20rocsparse_direction_T3_S2_llNS_24const_host_device_scalarIT7_EEPKT2_PKS2_PKT4_S2_PKT5_llS5_PT6_ll16rocsparse_order_21rocsparse_index_base_b
		.amdhsa_group_segment_fixed_size 768
		.amdhsa_private_segment_fixed_size 0
		.amdhsa_kernarg_size 148
		.amdhsa_user_sgpr_count 2
		.amdhsa_user_sgpr_dispatch_ptr 0
		.amdhsa_user_sgpr_queue_ptr 0
		.amdhsa_user_sgpr_kernarg_segment_ptr 1
		.amdhsa_user_sgpr_dispatch_id 0
		.amdhsa_user_sgpr_kernarg_preload_length 0
		.amdhsa_user_sgpr_kernarg_preload_offset 0
		.amdhsa_user_sgpr_private_segment_size 0
		.amdhsa_wavefront_size32 1
		.amdhsa_uses_dynamic_stack 0
		.amdhsa_enable_private_segment 0
		.amdhsa_system_sgpr_workgroup_id_x 1
		.amdhsa_system_sgpr_workgroup_id_y 1
		.amdhsa_system_sgpr_workgroup_id_z 0
		.amdhsa_system_sgpr_workgroup_info 0
		.amdhsa_system_vgpr_workitem_id 1
		.amdhsa_next_free_vgpr 30
		.amdhsa_next_free_sgpr 39
		.amdhsa_named_barrier_count 0
		.amdhsa_reserve_vcc 1
		.amdhsa_float_round_mode_32 0
		.amdhsa_float_round_mode_16_64 0
		.amdhsa_float_denorm_mode_32 3
		.amdhsa_float_denorm_mode_16_64 3
		.amdhsa_fp16_overflow 0
		.amdhsa_memory_ordered 1
		.amdhsa_forward_progress 1
		.amdhsa_inst_pref_size 15
		.amdhsa_round_robin_scheduling 0
		.amdhsa_exception_fp_ieee_invalid_op 0
		.amdhsa_exception_fp_denorm_src 0
		.amdhsa_exception_fp_ieee_div_zero 0
		.amdhsa_exception_fp_ieee_overflow 0
		.amdhsa_exception_fp_ieee_underflow 0
		.amdhsa_exception_fp_ieee_inexact 0
		.amdhsa_exception_int_div_zero 0
	.end_amdhsa_kernel
	.section	.text._ZN9rocsparseL31bsrmm_large_blockdim_kernel_extILj8ELj8ELj2EllaaffEEvb20rocsparse_direction_T3_S2_llNS_24const_host_device_scalarIT7_EEPKT2_PKS2_PKT4_S2_PKT5_llS5_PT6_ll16rocsparse_order_21rocsparse_index_base_b,"axG",@progbits,_ZN9rocsparseL31bsrmm_large_blockdim_kernel_extILj8ELj8ELj2EllaaffEEvb20rocsparse_direction_T3_S2_llNS_24const_host_device_scalarIT7_EEPKT2_PKS2_PKT4_S2_PKT5_llS5_PT6_ll16rocsparse_order_21rocsparse_index_base_b,comdat
.Lfunc_end80:
	.size	_ZN9rocsparseL31bsrmm_large_blockdim_kernel_extILj8ELj8ELj2EllaaffEEvb20rocsparse_direction_T3_S2_llNS_24const_host_device_scalarIT7_EEPKT2_PKS2_PKT4_S2_PKT5_llS5_PT6_ll16rocsparse_order_21rocsparse_index_base_b, .Lfunc_end80-_ZN9rocsparseL31bsrmm_large_blockdim_kernel_extILj8ELj8ELj2EllaaffEEvb20rocsparse_direction_T3_S2_llNS_24const_host_device_scalarIT7_EEPKT2_PKS2_PKT4_S2_PKT5_llS5_PT6_ll16rocsparse_order_21rocsparse_index_base_b
                                        ; -- End function
	.set _ZN9rocsparseL31bsrmm_large_blockdim_kernel_extILj8ELj8ELj2EllaaffEEvb20rocsparse_direction_T3_S2_llNS_24const_host_device_scalarIT7_EEPKT2_PKS2_PKT4_S2_PKT5_llS5_PT6_ll16rocsparse_order_21rocsparse_index_base_b.num_vgpr, 30
	.set _ZN9rocsparseL31bsrmm_large_blockdim_kernel_extILj8ELj8ELj2EllaaffEEvb20rocsparse_direction_T3_S2_llNS_24const_host_device_scalarIT7_EEPKT2_PKS2_PKT4_S2_PKT5_llS5_PT6_ll16rocsparse_order_21rocsparse_index_base_b.num_agpr, 0
	.set _ZN9rocsparseL31bsrmm_large_blockdim_kernel_extILj8ELj8ELj2EllaaffEEvb20rocsparse_direction_T3_S2_llNS_24const_host_device_scalarIT7_EEPKT2_PKS2_PKT4_S2_PKT5_llS5_PT6_ll16rocsparse_order_21rocsparse_index_base_b.numbered_sgpr, 39
	.set _ZN9rocsparseL31bsrmm_large_blockdim_kernel_extILj8ELj8ELj2EllaaffEEvb20rocsparse_direction_T3_S2_llNS_24const_host_device_scalarIT7_EEPKT2_PKS2_PKT4_S2_PKT5_llS5_PT6_ll16rocsparse_order_21rocsparse_index_base_b.num_named_barrier, 0
	.set _ZN9rocsparseL31bsrmm_large_blockdim_kernel_extILj8ELj8ELj2EllaaffEEvb20rocsparse_direction_T3_S2_llNS_24const_host_device_scalarIT7_EEPKT2_PKS2_PKT4_S2_PKT5_llS5_PT6_ll16rocsparse_order_21rocsparse_index_base_b.private_seg_size, 0
	.set _ZN9rocsparseL31bsrmm_large_blockdim_kernel_extILj8ELj8ELj2EllaaffEEvb20rocsparse_direction_T3_S2_llNS_24const_host_device_scalarIT7_EEPKT2_PKS2_PKT4_S2_PKT5_llS5_PT6_ll16rocsparse_order_21rocsparse_index_base_b.uses_vcc, 1
	.set _ZN9rocsparseL31bsrmm_large_blockdim_kernel_extILj8ELj8ELj2EllaaffEEvb20rocsparse_direction_T3_S2_llNS_24const_host_device_scalarIT7_EEPKT2_PKS2_PKT4_S2_PKT5_llS5_PT6_ll16rocsparse_order_21rocsparse_index_base_b.uses_flat_scratch, 0
	.set _ZN9rocsparseL31bsrmm_large_blockdim_kernel_extILj8ELj8ELj2EllaaffEEvb20rocsparse_direction_T3_S2_llNS_24const_host_device_scalarIT7_EEPKT2_PKS2_PKT4_S2_PKT5_llS5_PT6_ll16rocsparse_order_21rocsparse_index_base_b.has_dyn_sized_stack, 0
	.set _ZN9rocsparseL31bsrmm_large_blockdim_kernel_extILj8ELj8ELj2EllaaffEEvb20rocsparse_direction_T3_S2_llNS_24const_host_device_scalarIT7_EEPKT2_PKS2_PKT4_S2_PKT5_llS5_PT6_ll16rocsparse_order_21rocsparse_index_base_b.has_recursion, 0
	.set _ZN9rocsparseL31bsrmm_large_blockdim_kernel_extILj8ELj8ELj2EllaaffEEvb20rocsparse_direction_T3_S2_llNS_24const_host_device_scalarIT7_EEPKT2_PKS2_PKT4_S2_PKT5_llS5_PT6_ll16rocsparse_order_21rocsparse_index_base_b.has_indirect_call, 0
	.section	.AMDGPU.csdata,"",@progbits
; Kernel info:
; codeLenInByte = 1800
; TotalNumSgprs: 41
; NumVgprs: 30
; ScratchSize: 0
; MemoryBound: 0
; FloatMode: 240
; IeeeMode: 1
; LDSByteSize: 768 bytes/workgroup (compile time only)
; SGPRBlocks: 0
; VGPRBlocks: 1
; NumSGPRsForWavesPerEU: 41
; NumVGPRsForWavesPerEU: 30
; NamedBarCnt: 0
; Occupancy: 16
; WaveLimiterHint : 1
; COMPUTE_PGM_RSRC2:SCRATCH_EN: 0
; COMPUTE_PGM_RSRC2:USER_SGPR: 2
; COMPUTE_PGM_RSRC2:TRAP_HANDLER: 0
; COMPUTE_PGM_RSRC2:TGID_X_EN: 1
; COMPUTE_PGM_RSRC2:TGID_Y_EN: 1
; COMPUTE_PGM_RSRC2:TGID_Z_EN: 0
; COMPUTE_PGM_RSRC2:TIDIG_COMP_CNT: 1
	.section	.text._ZN9rocsparseL31bsrmm_large_blockdim_kernel_extILj4ELj16ELj2EllaaffEEvb20rocsparse_direction_T3_S2_llNS_24const_host_device_scalarIT7_EEPKT2_PKS2_PKT4_S2_PKT5_llS5_PT6_ll16rocsparse_order_21rocsparse_index_base_b,"axG",@progbits,_ZN9rocsparseL31bsrmm_large_blockdim_kernel_extILj4ELj16ELj2EllaaffEEvb20rocsparse_direction_T3_S2_llNS_24const_host_device_scalarIT7_EEPKT2_PKS2_PKT4_S2_PKT5_llS5_PT6_ll16rocsparse_order_21rocsparse_index_base_b,comdat
	.globl	_ZN9rocsparseL31bsrmm_large_blockdim_kernel_extILj4ELj16ELj2EllaaffEEvb20rocsparse_direction_T3_S2_llNS_24const_host_device_scalarIT7_EEPKT2_PKS2_PKT4_S2_PKT5_llS5_PT6_ll16rocsparse_order_21rocsparse_index_base_b ; -- Begin function _ZN9rocsparseL31bsrmm_large_blockdim_kernel_extILj4ELj16ELj2EllaaffEEvb20rocsparse_direction_T3_S2_llNS_24const_host_device_scalarIT7_EEPKT2_PKS2_PKT4_S2_PKT5_llS5_PT6_ll16rocsparse_order_21rocsparse_index_base_b
	.p2align	8
	.type	_ZN9rocsparseL31bsrmm_large_blockdim_kernel_extILj4ELj16ELj2EllaaffEEvb20rocsparse_direction_T3_S2_llNS_24const_host_device_scalarIT7_EEPKT2_PKS2_PKT4_S2_PKT5_llS5_PT6_ll16rocsparse_order_21rocsparse_index_base_b,@function
_ZN9rocsparseL31bsrmm_large_blockdim_kernel_extILj4ELj16ELj2EllaaffEEvb20rocsparse_direction_T3_S2_llNS_24const_host_device_scalarIT7_EEPKT2_PKS2_PKT4_S2_PKT5_llS5_PT6_ll16rocsparse_order_21rocsparse_index_base_b: ; @_ZN9rocsparseL31bsrmm_large_blockdim_kernel_extILj4ELj16ELj2EllaaffEEvb20rocsparse_direction_T3_S2_llNS_24const_host_device_scalarIT7_EEPKT2_PKS2_PKT4_S2_PKT5_llS5_PT6_ll16rocsparse_order_21rocsparse_index_base_b
; %bb.0:
	s_clause 0x2
	s_load_b96 s[16:18], s[0:1], 0x88
	s_load_b64 s[20:21], s[0:1], 0x28
	s_load_b64 s[22:23], s[0:1], 0x68
	s_wait_kmcnt 0x0
	s_bitcmp1_b32 s18, 0
	s_cselect_b32 s2, -1, 0
	s_delay_alu instid0(SALU_CYCLE_1)
	s_and_b32 vcc_lo, exec_lo, s2
	s_xor_b32 s2, s2, -1
	s_cbranch_vccnz .LBB81_2
; %bb.1:
	s_load_b32 s20, s[20:21], 0x0
.LBB81_2:
	s_and_not1_b32 vcc_lo, exec_lo, s2
	s_cbranch_vccnz .LBB81_4
; %bb.3:
	s_load_b32 s22, s[22:23], 0x0
.LBB81_4:
	s_wait_kmcnt 0x0
	s_cmp_eq_f32 s20, 0
	s_cselect_b32 s2, -1, 0
	s_cmp_eq_f32 s22, 1.0
	s_cselect_b32 s3, -1, 0
	s_delay_alu instid0(SALU_CYCLE_1) | instskip(NEXT) | instid1(SALU_CYCLE_1)
	s_and_b32 s2, s2, s3
	s_and_b32 vcc_lo, exec_lo, s2
	s_cbranch_vccnz .LBB81_48
; %bb.5:
	s_clause 0x1
	s_load_b128 s[4:7], s[0:1], 0x8
	s_load_b64 s[2:3], s[0:1], 0x30
	s_bfe_u32 s8, ttmp6, 0x4000c
	s_and_b32 s9, ttmp6, 15
	s_add_co_i32 s8, s8, 1
	s_mov_b64 s[24:25], 0
	s_mul_i32 s10, ttmp9, s8
	s_getreg_b32 s8, hwreg(HW_REG_IB_STS2, 6, 4)
	s_add_co_i32 s9, s9, s10
	s_cmp_eq_u32 s8, 0
	s_mov_b64 s[26:27], 0
	s_cselect_b32 s18, ttmp9, s9
	s_delay_alu instid0(SALU_CYCLE_1)
	s_ashr_i32 s19, s18, 31
	s_wait_kmcnt 0x0
	v_cmp_le_i64_e64 s9, s[4:5], s[18:19]
	v_cmp_gt_i64_e64 s21, s[4:5], s[18:19]
	s_and_b32 vcc_lo, exec_lo, s9
	s_cbranch_vccnz .LBB81_7
; %bb.6:
	s_lshl_b64 s[4:5], s[18:19], 3
	s_mov_b32 s11, 0
	s_add_nc_u64 s[4:5], s[2:3], s[4:5]
	s_mov_b32 s10, s17
	s_load_b64 s[4:5], s[4:5], 0x0
	s_wait_kmcnt 0x0
	s_sub_nc_u64 s[26:27], s[4:5], s[10:11]
.LBB81_7:
	s_and_not1_b32 vcc_lo, exec_lo, s21
	s_cbranch_vccnz .LBB81_9
; %bb.8:
	s_lshl_b64 s[4:5], s[18:19], 3
	s_delay_alu instid0(SALU_CYCLE_1)
	s_add_nc_u64 s[2:3], s[2:3], s[4:5]
	s_mov_b32 s5, 0
	s_load_b64 s[2:3], s[2:3], 0x8
	s_mov_b32 s4, s17
	s_wait_kmcnt 0x0
	s_sub_nc_u64 s[24:25], s[2:3], s[4:5]
.LBB81_9:
	s_bfe_u32 s2, ttmp6, 0x40010
	s_clause 0x1
	s_load_b64 s[28:29], s[0:1], 0x48
	s_load_b64 s[30:31], s[0:1], 0x70
	s_add_co_i32 s2, s2, 1
	s_bfe_u32 s3, ttmp6, 0x40004
	s_mul_i32 s2, ttmp7, s2
	v_bfe_u32 v12, v0, 10, 10
	s_add_co_i32 s3, s3, s2
	s_cmp_eq_u32 s8, 0
	v_and_b32_e32 v6, 0x3ff, v0
	s_cselect_b32 s2, ttmp7, s3
	v_cmp_ge_i64_e64 s5, s[26:27], s[24:25]
	v_lshl_add_u32 v2, s2, 5, v12
	v_mov_b32_e32 v3, 0
	s_mov_b32 s35, 0
	s_delay_alu instid0(VALU_DEP_1)
	v_dual_mov_b32 v7, v3 :: v_dual_add_nc_u32 v0, 16, v2
	v_mov_b32_e32 v1, v3
	v_cmp_gt_i64_e64 s3, s[6:7], v[2:3]
	s_and_b32 vcc_lo, exec_lo, s5
	s_wait_kmcnt 0x0
	v_cmp_gt_i64_e64 s2, s[28:29], v[6:7]
	v_cmp_gt_i64_e64 s4, s[6:7], v[0:1]
	s_cbranch_vccnz .LBB81_27
; %bb.10:
	s_clause 0x2
	s_load_b128 s[8:11], s[0:1], 0x38
	s_load_b128 s[12:15], s[0:1], 0x50
	s_load_b64 s[36:37], s[0:1], 0x0
	v_dual_mov_b32 v13, v3 :: v_dual_lshlrev_b32 v19, 4, v6
	v_lshl_add_u32 v18, v12, 2, 0x200
	v_dual_lshlrev_b32 v20, 4, v12 :: v_dual_lshlrev_b32 v23, 2, v6
	s_delay_alu instid0(VALU_DEP_3) | instskip(SKIP_2) | instid1(VALU_DEP_4)
	v_cmp_gt_i64_e32 vcc_lo, s[28:29], v[12:13]
	v_cmp_gt_i64_e64 s23, s[28:29], 0
	v_mov_b64_e32 v[4:5], 0
	v_dual_add_nc_u32 v24, v18, v19 :: v_dual_add_nc_u32 v23, v23, v20
	s_mov_b32 s34, s17
	s_and_b32 s19, s2, vcc_lo
	s_wait_kmcnt 0x0
	v_mad_nc_u64_u32 v[14:15], s28, v12, s[10:11]
	v_mad_nc_u64_u32 v[16:17], s28, v6, s[10:11]
	v_mul_u64_e32 v[8:9], s[14:15], v[2:3]
	v_mul_u64_e32 v[10:11], s[14:15], v[0:1]
	s_bitcmp1_b32 s36, 0
	s_mul_u64 s[10:11], s[28:29], s[28:29]
	s_cselect_b32 s5, -1, 0
	s_cmp_eq_u32 s37, 0
	s_cselect_b32 vcc_lo, -1, 0
	s_and_b32 s17, s3, s23
	s_delay_alu instid0(VALU_DEP_4) | instskip(NEXT) | instid1(VALU_DEP_4)
	v_mad_u32 v15, s29, v12, v15
	v_mad_u32 v17, s29, v6, v17
	s_and_b32 s23, s4, s23
	s_delay_alu instid0(VALU_DEP_2) | instskip(NEXT) | instid1(VALU_DEP_2)
	v_add_nc_u64_e32 v[14:15], v[14:15], v[6:7]
	v_add_nc_u64_e32 v[16:17], v[16:17], v[12:13]
	v_add_nc_u64_e32 v[12:13], s[12:13], v[6:7]
	v_add_nc_u32_e32 v21, 0x200, v19
	s_delay_alu instid0(VALU_DEP_3) | instskip(NEXT) | instid1(VALU_DEP_4)
	v_dual_cndmask_b32 v15, v15, v17 :: v_dual_add_nc_u32 v22, 0x100, v20
	v_cndmask_b32_e32 v14, v14, v16, vcc_lo
	s_branch .LBB81_13
.LBB81_11:                              ;   in Loop: Header=BB81_13 Depth=1
	s_or_b32 exec_lo, exec_lo, s38
.LBB81_12:                              ;   in Loop: Header=BB81_13 Depth=1
	s_delay_alu instid0(SALU_CYCLE_1) | instskip(SKIP_1) | instid1(SALU_CYCLE_1)
	s_or_b32 exec_lo, exec_lo, s33
	s_add_nc_u64 s[26:27], s[26:27], 1
	v_cmp_ge_i64_e64 s33, s[26:27], s[24:25]
	s_barrier_signal -1
	s_barrier_wait -1
	s_and_b32 vcc_lo, exec_lo, s33
	s_cbranch_vccnz .LBB81_28
.LBB81_13:                              ; =>This Loop Header: Depth=1
                                        ;     Child Loop BB81_23 Depth 2
                                        ;     Child Loop BB81_26 Depth 2
	s_and_saveexec_b32 s33, s2
	s_cbranch_execz .LBB81_18
; %bb.14:                               ;   in Loop: Header=BB81_13 Depth=1
	s_lshl_b64 s[36:37], s[26:27], 3
	s_delay_alu instid0(SALU_CYCLE_1) | instskip(SKIP_3) | instid1(SALU_CYCLE_1)
	s_add_nc_u64 s[36:37], s[8:9], s[36:37]
	s_load_b64 s[36:37], s[36:37], 0x0
	s_wait_kmcnt 0x0
	s_sub_nc_u64 s[36:37], s[36:37], s[34:35]
	v_mad_nc_u64_u32 v[26:27], s36, s28, v[6:7]
	s_mul_i32 s37, s37, s28
	s_mul_i32 s38, s36, s29
	s_delay_alu instid0(SALU_CYCLE_1) | instskip(NEXT) | instid1(VALU_DEP_1)
	s_add_co_i32 s38, s38, s37
	v_mad_nc_u64_u32 v[16:17], v26, s14, s[12:13]
	s_delay_alu instid0(VALU_DEP_2) | instskip(NEXT) | instid1(VALU_DEP_1)
	v_add_nc_u32_e32 v18, s38, v27
	v_mad_u32 v17, v18, s14, v17
	v_mad_nc_u64_u32 v[18:19], s36, s28, v[12:13]
	s_delay_alu instid0(VALU_DEP_2) | instskip(NEXT) | instid1(VALU_DEP_2)
	v_mad_u32 v17, v26, s15, v17
	v_add_nc_u32_e32 v19, s38, v19
	s_and_saveexec_b32 s36, s3
	s_cbranch_execz .LBB81_16
; %bb.15:                               ;   in Loop: Header=BB81_13 Depth=1
	s_delay_alu instid0(VALU_DEP_2) | instskip(NEXT) | instid1(VALU_DEP_2)
	v_add_nc_u64_e32 v[26:27], v[16:17], v[2:3]
	v_add_nc_u64_e32 v[28:29], v[18:19], v[8:9]
	s_delay_alu instid0(VALU_DEP_1)
	v_dual_cndmask_b32 v27, v27, v29, s5 :: v_dual_cndmask_b32 v26, v26, v28, s5
	global_load_i8 v25, v[26:27], off
	s_wait_loadcnt 0x0
	v_cvt_f32_i32_e32 v25, v25
	ds_store_b32 v23, v25
.LBB81_16:                              ;   in Loop: Header=BB81_13 Depth=1
	s_or_b32 exec_lo, exec_lo, s36
	s_delay_alu instid0(SALU_CYCLE_1)
	s_and_b32 exec_lo, exec_lo, s4
	s_cbranch_execz .LBB81_18
; %bb.17:                               ;   in Loop: Header=BB81_13 Depth=1
	s_delay_alu instid0(VALU_DEP_3) | instskip(NEXT) | instid1(VALU_DEP_3)
	v_add_nc_u64_e32 v[18:19], v[18:19], v[10:11]
	v_add_nc_u64_e32 v[16:17], v[16:17], v[0:1]
	s_delay_alu instid0(VALU_DEP_1)
	v_dual_cndmask_b32 v17, v17, v19, s5 :: v_dual_cndmask_b32 v16, v16, v18, s5
	global_load_i8 v16, v[16:17], off
	s_wait_loadcnt 0x0
	v_cvt_f32_i32_e32 v16, v16
	ds_store_b32 v23, v16 offset:256
.LBB81_18:                              ;   in Loop: Header=BB81_13 Depth=1
	s_or_b32 exec_lo, exec_lo, s33
	s_and_saveexec_b32 s33, s19
	s_cbranch_execz .LBB81_20
; %bb.19:                               ;   in Loop: Header=BB81_13 Depth=1
	v_mad_nc_u64_u32 v[16:17], s10, s26, v[14:15]
	s_mul_i32 s36, s11, s26
	s_mul_i32 s37, s10, s27
	s_delay_alu instid0(VALU_DEP_1) | instid1(SALU_CYCLE_1)
	v_add3_u32 v17, s37, s36, v17
	global_load_i8 v16, v[16:17], off
	s_wait_loadcnt 0x0
	v_cvt_f32_i32_e32 v16, v16
	ds_store_b32 v24, v16
.LBB81_20:                              ;   in Loop: Header=BB81_13 Depth=1
	s_or_b32 exec_lo, exec_lo, s33
	s_wait_dscnt 0x0
	s_barrier_signal -1
	s_barrier_wait -1
	s_and_saveexec_b32 s33, s2
	s_cbranch_execz .LBB81_12
; %bb.21:                               ;   in Loop: Header=BB81_13 Depth=1
	s_and_saveexec_b32 s38, s17
	s_cbranch_execz .LBB81_24
; %bb.22:                               ;   in Loop: Header=BB81_13 Depth=1
	v_dual_mov_b32 v16, v21 :: v_dual_mov_b32 v17, v20
	s_mov_b64 s[36:37], s[28:29]
.LBB81_23:                              ;   Parent Loop BB81_13 Depth=1
                                        ; =>  This Inner Loop Header: Depth=2
	ds_load_b32 v18, v16
	ds_load_b32 v19, v17
	v_dual_add_nc_u32 v17, 4, v17 :: v_dual_add_nc_u32 v16, 4, v16
	s_add_nc_u64 s[36:37], s[36:37], -1
	s_delay_alu instid0(SALU_CYCLE_1)
	s_cmp_lg_u64 s[36:37], 0
	s_wait_dscnt 0x0
	v_fma_f32 v4, v18, v19, v4
	s_cbranch_scc1 .LBB81_23
.LBB81_24:                              ;   in Loop: Header=BB81_13 Depth=1
	s_or_b32 exec_lo, exec_lo, s38
	s_and_saveexec_b32 s38, s23
	s_cbranch_execz .LBB81_11
; %bb.25:                               ;   in Loop: Header=BB81_13 Depth=1
	v_dual_mov_b32 v16, v21 :: v_dual_mov_b32 v17, v22
	s_mov_b64 s[36:37], s[28:29]
.LBB81_26:                              ;   Parent Loop BB81_13 Depth=1
                                        ; =>  This Inner Loop Header: Depth=2
	ds_load_b32 v18, v16
	ds_load_b32 v19, v17
	v_dual_add_nc_u32 v17, 4, v17 :: v_dual_add_nc_u32 v16, 4, v16
	s_add_nc_u64 s[36:37], s[36:37], -1
	s_delay_alu instid0(SALU_CYCLE_1)
	s_cmp_lg_u64 s[36:37], 0
	s_wait_dscnt 0x0
	v_fma_f32 v5, v18, v19, v5
	s_cbranch_scc1 .LBB81_26
	s_branch .LBB81_11
.LBB81_27:
	v_mov_b64_e32 v[4:5], 0
.LBB81_28:
	s_and_b32 s2, s21, s2
	s_delay_alu instid0(SALU_CYCLE_1)
	s_and_saveexec_b32 s3, s2
	s_cbranch_execz .LBB81_48
; %bb.29:
	v_mad_nc_u64_u32 v[6:7], s28, s18, v[6:7]
	s_load_b64 s[2:3], s[0:1], 0x78
	s_cmp_neq_f32 s22, 0
	s_wait_xcnt 0x0
	s_mov_b32 s0, exec_lo
	s_cselect_b32 s4, -1, 0
	s_cmp_lg_u32 s16, 1
	s_cselect_b32 s1, -1, 0
	s_delay_alu instid0(VALU_DEP_1) | instskip(SKIP_1) | instid1(VALU_DEP_1)
	v_mad_u32 v7, s29, s18, v7
	s_wait_kmcnt 0x0
	v_mul_u64_e32 v[8:9], s[2:3], v[6:7]
	v_lshl_add_u64 v[6:7], v[6:7], 2, s[30:31]
	s_delay_alu instid0(VALU_DEP_2)
	v_lshl_add_u64 v[8:9], v[8:9], 2, s[30:31]
	v_cmpx_gt_i64_e64 s[6:7], v[2:3]
	s_cbranch_execz .LBB81_41
; %bb.30:
	s_and_b32 vcc_lo, exec_lo, s4
	s_cbranch_vccz .LBB81_36
; %bb.31:
	s_and_b32 vcc_lo, exec_lo, s1
	s_mov_b32 s5, -1
	s_cbranch_vccz .LBB81_33
; %bb.32:
	v_lshl_add_u64 v[10:11], v[2:3], 2, v[8:9]
	v_mul_f32_e32 v13, s20, v4
	s_mov_b32 s5, 0
	global_load_b32 v12, v[10:11], off
	s_wait_loadcnt 0x0
	v_fmac_f32_e32 v13, s22, v12
	global_store_b32 v[10:11], v13, off
.LBB81_33:
	s_and_not1_b32 vcc_lo, exec_lo, s5
	s_cbranch_vccnz .LBB81_35
; %bb.34:
	s_wait_xcnt 0x0
	v_mul_u64_e32 v[10:11], s[2:3], v[2:3]
	v_mul_f32_e32 v13, s20, v4
	s_delay_alu instid0(VALU_DEP_2)
	v_lshl_add_u64 v[10:11], v[10:11], 2, v[6:7]
	global_load_b32 v12, v[10:11], off
	s_wait_loadcnt 0x0
	v_fmac_f32_e32 v13, s22, v12
	global_store_b32 v[10:11], v13, off
.LBB81_35:
	s_cbranch_execz .LBB81_37
	s_branch .LBB81_41
.LBB81_36:
.LBB81_37:
	v_mul_f32_e32 v4, s20, v4
	s_and_b32 vcc_lo, exec_lo, s1
	s_mov_b32 s5, -1
	s_cbranch_vccz .LBB81_39
; %bb.38:
	s_wait_xcnt 0x0
	v_lshl_add_u64 v[10:11], v[2:3], 2, v[8:9]
	s_mov_b32 s5, 0
	global_store_b32 v[10:11], v4, off
.LBB81_39:
	s_and_not1_b32 vcc_lo, exec_lo, s5
	s_cbranch_vccnz .LBB81_41
; %bb.40:
	v_mul_u64_e32 v[2:3], s[2:3], v[2:3]
	s_delay_alu instid0(VALU_DEP_1)
	v_lshl_add_u64 v[2:3], v[2:3], 2, v[6:7]
	global_store_b32 v[2:3], v4, off
.LBB81_41:
	s_wait_xcnt 0x0
	s_or_b32 exec_lo, exec_lo, s0
	v_cmp_gt_i64_e32 vcc_lo, s[6:7], v[0:1]
	s_and_b32 exec_lo, exec_lo, vcc_lo
	s_cbranch_execz .LBB81_48
; %bb.42:
	v_cndmask_b32_e64 v2, 0, 1, s1
	s_and_not1_b32 vcc_lo, exec_lo, s4
	s_delay_alu instid0(VALU_DEP_1)
	v_cmp_ne_u32_e64 s0, 1, v2
	s_cbranch_vccnz .LBB81_49
; %bb.43:
	s_and_b32 vcc_lo, exec_lo, s0
	s_mov_b32 s0, -1
	s_cbranch_vccnz .LBB81_45
; %bb.44:
	v_lshl_add_u64 v[2:3], v[0:1], 2, v[8:9]
	v_mul_f32_e32 v10, s20, v5
	s_mov_b32 s0, 0
	global_load_b32 v4, v[2:3], off
	s_wait_loadcnt 0x0
	v_fmac_f32_e32 v10, s22, v4
	global_store_b32 v[2:3], v10, off
.LBB81_45:
	s_and_not1_b32 vcc_lo, exec_lo, s0
	s_cbranch_vccnz .LBB81_47
; %bb.46:
	s_wait_xcnt 0x0
	v_mul_u64_e32 v[2:3], s[2:3], v[0:1]
	v_mul_f32_e32 v10, s20, v5
	s_delay_alu instid0(VALU_DEP_2)
	v_lshl_add_u64 v[2:3], v[2:3], 2, v[6:7]
	global_load_b32 v4, v[2:3], off
	s_wait_loadcnt 0x0
	v_fmac_f32_e32 v10, s22, v4
	global_store_b32 v[2:3], v10, off
.LBB81_47:
	s_cbranch_execz .LBB81_50
.LBB81_48:
	s_endpgm
.LBB81_49:
.LBB81_50:
	s_wait_xcnt 0x0
	v_mul_f32_e32 v2, s20, v5
	s_and_not1_b32 vcc_lo, exec_lo, s1
	s_mov_b32 s0, -1
	s_cbranch_vccnz .LBB81_52
; %bb.51:
	v_lshl_add_u64 v[4:5], v[0:1], 2, v[8:9]
	s_mov_b32 s0, 0
	global_store_b32 v[4:5], v2, off
.LBB81_52:
	s_and_not1_b32 vcc_lo, exec_lo, s0
	s_cbranch_vccnz .LBB81_48
; %bb.53:
	v_mul_u64_e32 v[0:1], s[2:3], v[0:1]
	s_delay_alu instid0(VALU_DEP_1)
	v_lshl_add_u64 v[0:1], v[0:1], 2, v[6:7]
	global_store_b32 v[0:1], v2, off
	s_endpgm
	.section	.rodata,"a",@progbits
	.p2align	6, 0x0
	.amdhsa_kernel _ZN9rocsparseL31bsrmm_large_blockdim_kernel_extILj4ELj16ELj2EllaaffEEvb20rocsparse_direction_T3_S2_llNS_24const_host_device_scalarIT7_EEPKT2_PKS2_PKT4_S2_PKT5_llS5_PT6_ll16rocsparse_order_21rocsparse_index_base_b
		.amdhsa_group_segment_fixed_size 576
		.amdhsa_private_segment_fixed_size 0
		.amdhsa_kernarg_size 148
		.amdhsa_user_sgpr_count 2
		.amdhsa_user_sgpr_dispatch_ptr 0
		.amdhsa_user_sgpr_queue_ptr 0
		.amdhsa_user_sgpr_kernarg_segment_ptr 1
		.amdhsa_user_sgpr_dispatch_id 0
		.amdhsa_user_sgpr_kernarg_preload_length 0
		.amdhsa_user_sgpr_kernarg_preload_offset 0
		.amdhsa_user_sgpr_private_segment_size 0
		.amdhsa_wavefront_size32 1
		.amdhsa_uses_dynamic_stack 0
		.amdhsa_enable_private_segment 0
		.amdhsa_system_sgpr_workgroup_id_x 1
		.amdhsa_system_sgpr_workgroup_id_y 1
		.amdhsa_system_sgpr_workgroup_id_z 0
		.amdhsa_system_sgpr_workgroup_info 0
		.amdhsa_system_vgpr_workitem_id 1
		.amdhsa_next_free_vgpr 30
		.amdhsa_next_free_sgpr 39
		.amdhsa_named_barrier_count 0
		.amdhsa_reserve_vcc 1
		.amdhsa_float_round_mode_32 0
		.amdhsa_float_round_mode_16_64 0
		.amdhsa_float_denorm_mode_32 3
		.amdhsa_float_denorm_mode_16_64 3
		.amdhsa_fp16_overflow 0
		.amdhsa_memory_ordered 1
		.amdhsa_forward_progress 1
		.amdhsa_inst_pref_size 15
		.amdhsa_round_robin_scheduling 0
		.amdhsa_exception_fp_ieee_invalid_op 0
		.amdhsa_exception_fp_denorm_src 0
		.amdhsa_exception_fp_ieee_div_zero 0
		.amdhsa_exception_fp_ieee_overflow 0
		.amdhsa_exception_fp_ieee_underflow 0
		.amdhsa_exception_fp_ieee_inexact 0
		.amdhsa_exception_int_div_zero 0
	.end_amdhsa_kernel
	.section	.text._ZN9rocsparseL31bsrmm_large_blockdim_kernel_extILj4ELj16ELj2EllaaffEEvb20rocsparse_direction_T3_S2_llNS_24const_host_device_scalarIT7_EEPKT2_PKS2_PKT4_S2_PKT5_llS5_PT6_ll16rocsparse_order_21rocsparse_index_base_b,"axG",@progbits,_ZN9rocsparseL31bsrmm_large_blockdim_kernel_extILj4ELj16ELj2EllaaffEEvb20rocsparse_direction_T3_S2_llNS_24const_host_device_scalarIT7_EEPKT2_PKS2_PKT4_S2_PKT5_llS5_PT6_ll16rocsparse_order_21rocsparse_index_base_b,comdat
.Lfunc_end81:
	.size	_ZN9rocsparseL31bsrmm_large_blockdim_kernel_extILj4ELj16ELj2EllaaffEEvb20rocsparse_direction_T3_S2_llNS_24const_host_device_scalarIT7_EEPKT2_PKS2_PKT4_S2_PKT5_llS5_PT6_ll16rocsparse_order_21rocsparse_index_base_b, .Lfunc_end81-_ZN9rocsparseL31bsrmm_large_blockdim_kernel_extILj4ELj16ELj2EllaaffEEvb20rocsparse_direction_T3_S2_llNS_24const_host_device_scalarIT7_EEPKT2_PKS2_PKT4_S2_PKT5_llS5_PT6_ll16rocsparse_order_21rocsparse_index_base_b
                                        ; -- End function
	.set _ZN9rocsparseL31bsrmm_large_blockdim_kernel_extILj4ELj16ELj2EllaaffEEvb20rocsparse_direction_T3_S2_llNS_24const_host_device_scalarIT7_EEPKT2_PKS2_PKT4_S2_PKT5_llS5_PT6_ll16rocsparse_order_21rocsparse_index_base_b.num_vgpr, 30
	.set _ZN9rocsparseL31bsrmm_large_blockdim_kernel_extILj4ELj16ELj2EllaaffEEvb20rocsparse_direction_T3_S2_llNS_24const_host_device_scalarIT7_EEPKT2_PKS2_PKT4_S2_PKT5_llS5_PT6_ll16rocsparse_order_21rocsparse_index_base_b.num_agpr, 0
	.set _ZN9rocsparseL31bsrmm_large_blockdim_kernel_extILj4ELj16ELj2EllaaffEEvb20rocsparse_direction_T3_S2_llNS_24const_host_device_scalarIT7_EEPKT2_PKS2_PKT4_S2_PKT5_llS5_PT6_ll16rocsparse_order_21rocsparse_index_base_b.numbered_sgpr, 39
	.set _ZN9rocsparseL31bsrmm_large_blockdim_kernel_extILj4ELj16ELj2EllaaffEEvb20rocsparse_direction_T3_S2_llNS_24const_host_device_scalarIT7_EEPKT2_PKS2_PKT4_S2_PKT5_llS5_PT6_ll16rocsparse_order_21rocsparse_index_base_b.num_named_barrier, 0
	.set _ZN9rocsparseL31bsrmm_large_blockdim_kernel_extILj4ELj16ELj2EllaaffEEvb20rocsparse_direction_T3_S2_llNS_24const_host_device_scalarIT7_EEPKT2_PKS2_PKT4_S2_PKT5_llS5_PT6_ll16rocsparse_order_21rocsparse_index_base_b.private_seg_size, 0
	.set _ZN9rocsparseL31bsrmm_large_blockdim_kernel_extILj4ELj16ELj2EllaaffEEvb20rocsparse_direction_T3_S2_llNS_24const_host_device_scalarIT7_EEPKT2_PKS2_PKT4_S2_PKT5_llS5_PT6_ll16rocsparse_order_21rocsparse_index_base_b.uses_vcc, 1
	.set _ZN9rocsparseL31bsrmm_large_blockdim_kernel_extILj4ELj16ELj2EllaaffEEvb20rocsparse_direction_T3_S2_llNS_24const_host_device_scalarIT7_EEPKT2_PKS2_PKT4_S2_PKT5_llS5_PT6_ll16rocsparse_order_21rocsparse_index_base_b.uses_flat_scratch, 0
	.set _ZN9rocsparseL31bsrmm_large_blockdim_kernel_extILj4ELj16ELj2EllaaffEEvb20rocsparse_direction_T3_S2_llNS_24const_host_device_scalarIT7_EEPKT2_PKS2_PKT4_S2_PKT5_llS5_PT6_ll16rocsparse_order_21rocsparse_index_base_b.has_dyn_sized_stack, 0
	.set _ZN9rocsparseL31bsrmm_large_blockdim_kernel_extILj4ELj16ELj2EllaaffEEvb20rocsparse_direction_T3_S2_llNS_24const_host_device_scalarIT7_EEPKT2_PKS2_PKT4_S2_PKT5_llS5_PT6_ll16rocsparse_order_21rocsparse_index_base_b.has_recursion, 0
	.set _ZN9rocsparseL31bsrmm_large_blockdim_kernel_extILj4ELj16ELj2EllaaffEEvb20rocsparse_direction_T3_S2_llNS_24const_host_device_scalarIT7_EEPKT2_PKS2_PKT4_S2_PKT5_llS5_PT6_ll16rocsparse_order_21rocsparse_index_base_b.has_indirect_call, 0
	.section	.AMDGPU.csdata,"",@progbits
; Kernel info:
; codeLenInByte = 1800
; TotalNumSgprs: 41
; NumVgprs: 30
; ScratchSize: 0
; MemoryBound: 0
; FloatMode: 240
; IeeeMode: 1
; LDSByteSize: 576 bytes/workgroup (compile time only)
; SGPRBlocks: 0
; VGPRBlocks: 1
; NumSGPRsForWavesPerEU: 41
; NumVGPRsForWavesPerEU: 30
; NamedBarCnt: 0
; Occupancy: 16
; WaveLimiterHint : 1
; COMPUTE_PGM_RSRC2:SCRATCH_EN: 0
; COMPUTE_PGM_RSRC2:USER_SGPR: 2
; COMPUTE_PGM_RSRC2:TRAP_HANDLER: 0
; COMPUTE_PGM_RSRC2:TGID_X_EN: 1
; COMPUTE_PGM_RSRC2:TGID_Y_EN: 1
; COMPUTE_PGM_RSRC2:TGID_Z_EN: 0
; COMPUTE_PGM_RSRC2:TIDIG_COMP_CNT: 1
	.section	.text._ZN9rocsparseL31bsrmm_large_blockdim_kernel_extILj16ELj16ELj2EllaaffEEvb20rocsparse_direction_T3_S2_llNS_24const_host_device_scalarIT7_EEPKT2_PKS2_PKT4_S2_PKT5_llS5_PT6_ll16rocsparse_order_21rocsparse_index_base_b,"axG",@progbits,_ZN9rocsparseL31bsrmm_large_blockdim_kernel_extILj16ELj16ELj2EllaaffEEvb20rocsparse_direction_T3_S2_llNS_24const_host_device_scalarIT7_EEPKT2_PKS2_PKT4_S2_PKT5_llS5_PT6_ll16rocsparse_order_21rocsparse_index_base_b,comdat
	.globl	_ZN9rocsparseL31bsrmm_large_blockdim_kernel_extILj16ELj16ELj2EllaaffEEvb20rocsparse_direction_T3_S2_llNS_24const_host_device_scalarIT7_EEPKT2_PKS2_PKT4_S2_PKT5_llS5_PT6_ll16rocsparse_order_21rocsparse_index_base_b ; -- Begin function _ZN9rocsparseL31bsrmm_large_blockdim_kernel_extILj16ELj16ELj2EllaaffEEvb20rocsparse_direction_T3_S2_llNS_24const_host_device_scalarIT7_EEPKT2_PKS2_PKT4_S2_PKT5_llS5_PT6_ll16rocsparse_order_21rocsparse_index_base_b
	.p2align	8
	.type	_ZN9rocsparseL31bsrmm_large_blockdim_kernel_extILj16ELj16ELj2EllaaffEEvb20rocsparse_direction_T3_S2_llNS_24const_host_device_scalarIT7_EEPKT2_PKS2_PKT4_S2_PKT5_llS5_PT6_ll16rocsparse_order_21rocsparse_index_base_b,@function
_ZN9rocsparseL31bsrmm_large_blockdim_kernel_extILj16ELj16ELj2EllaaffEEvb20rocsparse_direction_T3_S2_llNS_24const_host_device_scalarIT7_EEPKT2_PKS2_PKT4_S2_PKT5_llS5_PT6_ll16rocsparse_order_21rocsparse_index_base_b: ; @_ZN9rocsparseL31bsrmm_large_blockdim_kernel_extILj16ELj16ELj2EllaaffEEvb20rocsparse_direction_T3_S2_llNS_24const_host_device_scalarIT7_EEPKT2_PKS2_PKT4_S2_PKT5_llS5_PT6_ll16rocsparse_order_21rocsparse_index_base_b
; %bb.0:
	s_clause 0x2
	s_load_b96 s[16:18], s[0:1], 0x88
	s_load_b64 s[20:21], s[0:1], 0x28
	s_load_b64 s[22:23], s[0:1], 0x68
	s_wait_kmcnt 0x0
	s_bitcmp1_b32 s18, 0
	s_cselect_b32 s2, -1, 0
	s_delay_alu instid0(SALU_CYCLE_1)
	s_and_b32 vcc_lo, exec_lo, s2
	s_xor_b32 s2, s2, -1
	s_cbranch_vccnz .LBB82_2
; %bb.1:
	s_load_b32 s20, s[20:21], 0x0
.LBB82_2:
	s_and_not1_b32 vcc_lo, exec_lo, s2
	s_cbranch_vccnz .LBB82_4
; %bb.3:
	s_load_b32 s22, s[22:23], 0x0
.LBB82_4:
	s_wait_kmcnt 0x0
	s_cmp_eq_f32 s20, 0
	s_cselect_b32 s2, -1, 0
	s_cmp_eq_f32 s22, 1.0
	s_cselect_b32 s3, -1, 0
	s_delay_alu instid0(SALU_CYCLE_1) | instskip(NEXT) | instid1(SALU_CYCLE_1)
	s_and_b32 s2, s2, s3
	s_and_b32 vcc_lo, exec_lo, s2
	s_cbranch_vccnz .LBB82_48
; %bb.5:
	s_clause 0x1
	s_load_b128 s[4:7], s[0:1], 0x8
	s_load_b64 s[2:3], s[0:1], 0x30
	s_bfe_u32 s8, ttmp6, 0x4000c
	s_and_b32 s9, ttmp6, 15
	s_add_co_i32 s8, s8, 1
	s_mov_b64 s[24:25], 0
	s_mul_i32 s10, ttmp9, s8
	s_getreg_b32 s8, hwreg(HW_REG_IB_STS2, 6, 4)
	s_add_co_i32 s9, s9, s10
	s_cmp_eq_u32 s8, 0
	s_mov_b64 s[26:27], 0
	s_cselect_b32 s18, ttmp9, s9
	s_delay_alu instid0(SALU_CYCLE_1)
	s_ashr_i32 s19, s18, 31
	s_wait_kmcnt 0x0
	v_cmp_le_i64_e64 s9, s[4:5], s[18:19]
	v_cmp_gt_i64_e64 s21, s[4:5], s[18:19]
	s_and_b32 vcc_lo, exec_lo, s9
	s_cbranch_vccnz .LBB82_7
; %bb.6:
	s_lshl_b64 s[4:5], s[18:19], 3
	s_mov_b32 s11, 0
	s_add_nc_u64 s[4:5], s[2:3], s[4:5]
	s_mov_b32 s10, s17
	s_load_b64 s[4:5], s[4:5], 0x0
	s_wait_kmcnt 0x0
	s_sub_nc_u64 s[26:27], s[4:5], s[10:11]
.LBB82_7:
	s_and_not1_b32 vcc_lo, exec_lo, s21
	s_cbranch_vccnz .LBB82_9
; %bb.8:
	s_lshl_b64 s[4:5], s[18:19], 3
	s_delay_alu instid0(SALU_CYCLE_1)
	s_add_nc_u64 s[2:3], s[2:3], s[4:5]
	s_mov_b32 s5, 0
	s_load_b64 s[2:3], s[2:3], 0x8
	s_mov_b32 s4, s17
	s_wait_kmcnt 0x0
	s_sub_nc_u64 s[24:25], s[2:3], s[4:5]
.LBB82_9:
	s_bfe_u32 s2, ttmp6, 0x40010
	s_clause 0x1
	s_load_b64 s[28:29], s[0:1], 0x48
	s_load_b64 s[30:31], s[0:1], 0x70
	s_add_co_i32 s2, s2, 1
	s_bfe_u32 s3, ttmp6, 0x40004
	s_mul_i32 s2, ttmp7, s2
	v_bfe_u32 v12, v0, 10, 10
	s_add_co_i32 s3, s3, s2
	s_cmp_eq_u32 s8, 0
	v_and_b32_e32 v6, 0x3ff, v0
	s_cselect_b32 s2, ttmp7, s3
	v_cmp_ge_i64_e64 s5, s[26:27], s[24:25]
	v_lshl_add_u32 v2, s2, 5, v12
	v_mov_b32_e32 v3, 0
	s_mov_b32 s35, 0
	s_delay_alu instid0(VALU_DEP_1)
	v_dual_mov_b32 v7, v3 :: v_dual_add_nc_u32 v0, 16, v2
	v_mov_b32_e32 v1, v3
	v_cmp_gt_i64_e64 s3, s[6:7], v[2:3]
	s_and_b32 vcc_lo, exec_lo, s5
	s_wait_kmcnt 0x0
	v_cmp_gt_i64_e64 s2, s[28:29], v[6:7]
	v_cmp_gt_i64_e64 s4, s[6:7], v[0:1]
	s_cbranch_vccnz .LBB82_27
; %bb.10:
	s_clause 0x2
	s_load_b128 s[8:11], s[0:1], 0x38
	s_load_b128 s[12:15], s[0:1], 0x50
	s_load_b64 s[36:37], s[0:1], 0x0
	v_dual_mov_b32 v13, v3 :: v_dual_lshlrev_b32 v19, 6, v6
	v_lshl_add_u32 v18, v12, 2, 0x800
	v_dual_lshlrev_b32 v20, 6, v12 :: v_dual_lshlrev_b32 v23, 2, v6
	s_delay_alu instid0(VALU_DEP_3) | instskip(SKIP_2) | instid1(VALU_DEP_4)
	v_cmp_gt_i64_e32 vcc_lo, s[28:29], v[12:13]
	v_cmp_gt_i64_e64 s23, s[28:29], 0
	v_mov_b64_e32 v[4:5], 0
	v_dual_add_nc_u32 v24, v18, v19 :: v_dual_add_nc_u32 v23, v23, v20
	s_mov_b32 s34, s17
	s_and_b32 s19, s2, vcc_lo
	s_wait_kmcnt 0x0
	v_mad_nc_u64_u32 v[14:15], s28, v12, s[10:11]
	v_mad_nc_u64_u32 v[16:17], s28, v6, s[10:11]
	v_mul_u64_e32 v[8:9], s[14:15], v[2:3]
	v_mul_u64_e32 v[10:11], s[14:15], v[0:1]
	s_bitcmp1_b32 s36, 0
	s_mul_u64 s[10:11], s[28:29], s[28:29]
	s_cselect_b32 s5, -1, 0
	s_cmp_eq_u32 s37, 0
	s_cselect_b32 vcc_lo, -1, 0
	s_and_b32 s17, s3, s23
	s_delay_alu instid0(VALU_DEP_4) | instskip(NEXT) | instid1(VALU_DEP_4)
	v_mad_u32 v15, s29, v12, v15
	v_mad_u32 v17, s29, v6, v17
	s_and_b32 s23, s4, s23
	s_delay_alu instid0(VALU_DEP_2) | instskip(NEXT) | instid1(VALU_DEP_2)
	v_add_nc_u64_e32 v[14:15], v[14:15], v[6:7]
	v_add_nc_u64_e32 v[16:17], v[16:17], v[12:13]
	;; [unrolled: 1-line block ×3, first 2 shown]
	v_add_nc_u32_e32 v21, 0x800, v19
	s_delay_alu instid0(VALU_DEP_3) | instskip(NEXT) | instid1(VALU_DEP_4)
	v_dual_cndmask_b32 v15, v15, v17 :: v_dual_add_nc_u32 v22, 0x400, v20
	v_cndmask_b32_e32 v14, v14, v16, vcc_lo
	s_branch .LBB82_13
.LBB82_11:                              ;   in Loop: Header=BB82_13 Depth=1
	s_or_b32 exec_lo, exec_lo, s38
.LBB82_12:                              ;   in Loop: Header=BB82_13 Depth=1
	s_delay_alu instid0(SALU_CYCLE_1) | instskip(SKIP_1) | instid1(SALU_CYCLE_1)
	s_or_b32 exec_lo, exec_lo, s33
	s_add_nc_u64 s[26:27], s[26:27], 1
	v_cmp_ge_i64_e64 s33, s[26:27], s[24:25]
	s_barrier_signal -1
	s_barrier_wait -1
	s_and_b32 vcc_lo, exec_lo, s33
	s_cbranch_vccnz .LBB82_28
.LBB82_13:                              ; =>This Loop Header: Depth=1
                                        ;     Child Loop BB82_23 Depth 2
                                        ;     Child Loop BB82_26 Depth 2
	s_and_saveexec_b32 s33, s2
	s_cbranch_execz .LBB82_18
; %bb.14:                               ;   in Loop: Header=BB82_13 Depth=1
	s_lshl_b64 s[36:37], s[26:27], 3
	s_delay_alu instid0(SALU_CYCLE_1) | instskip(SKIP_3) | instid1(SALU_CYCLE_1)
	s_add_nc_u64 s[36:37], s[8:9], s[36:37]
	s_load_b64 s[36:37], s[36:37], 0x0
	s_wait_kmcnt 0x0
	s_sub_nc_u64 s[36:37], s[36:37], s[34:35]
	v_mad_nc_u64_u32 v[26:27], s36, s28, v[6:7]
	s_mul_i32 s37, s37, s28
	s_mul_i32 s38, s36, s29
	s_delay_alu instid0(SALU_CYCLE_1) | instskip(NEXT) | instid1(VALU_DEP_1)
	s_add_co_i32 s38, s38, s37
	v_mad_nc_u64_u32 v[16:17], v26, s14, s[12:13]
	s_delay_alu instid0(VALU_DEP_2) | instskip(NEXT) | instid1(VALU_DEP_1)
	v_add_nc_u32_e32 v18, s38, v27
	v_mad_u32 v17, v18, s14, v17
	v_mad_nc_u64_u32 v[18:19], s36, s28, v[12:13]
	s_delay_alu instid0(VALU_DEP_2) | instskip(NEXT) | instid1(VALU_DEP_2)
	v_mad_u32 v17, v26, s15, v17
	v_add_nc_u32_e32 v19, s38, v19
	s_and_saveexec_b32 s36, s3
	s_cbranch_execz .LBB82_16
; %bb.15:                               ;   in Loop: Header=BB82_13 Depth=1
	s_delay_alu instid0(VALU_DEP_2) | instskip(NEXT) | instid1(VALU_DEP_2)
	v_add_nc_u64_e32 v[26:27], v[16:17], v[2:3]
	v_add_nc_u64_e32 v[28:29], v[18:19], v[8:9]
	s_delay_alu instid0(VALU_DEP_1)
	v_dual_cndmask_b32 v27, v27, v29, s5 :: v_dual_cndmask_b32 v26, v26, v28, s5
	global_load_i8 v25, v[26:27], off
	s_wait_loadcnt 0x0
	v_cvt_f32_i32_e32 v25, v25
	ds_store_b32 v23, v25
.LBB82_16:                              ;   in Loop: Header=BB82_13 Depth=1
	s_or_b32 exec_lo, exec_lo, s36
	s_delay_alu instid0(SALU_CYCLE_1)
	s_and_b32 exec_lo, exec_lo, s4
	s_cbranch_execz .LBB82_18
; %bb.17:                               ;   in Loop: Header=BB82_13 Depth=1
	s_delay_alu instid0(VALU_DEP_3) | instskip(NEXT) | instid1(VALU_DEP_3)
	v_add_nc_u64_e32 v[18:19], v[18:19], v[10:11]
	v_add_nc_u64_e32 v[16:17], v[16:17], v[0:1]
	s_delay_alu instid0(VALU_DEP_1)
	v_dual_cndmask_b32 v17, v17, v19, s5 :: v_dual_cndmask_b32 v16, v16, v18, s5
	global_load_i8 v16, v[16:17], off
	s_wait_loadcnt 0x0
	v_cvt_f32_i32_e32 v16, v16
	ds_store_b32 v23, v16 offset:1024
.LBB82_18:                              ;   in Loop: Header=BB82_13 Depth=1
	s_or_b32 exec_lo, exec_lo, s33
	s_and_saveexec_b32 s33, s19
	s_cbranch_execz .LBB82_20
; %bb.19:                               ;   in Loop: Header=BB82_13 Depth=1
	v_mad_nc_u64_u32 v[16:17], s10, s26, v[14:15]
	s_mul_i32 s36, s11, s26
	s_mul_i32 s37, s10, s27
	s_delay_alu instid0(VALU_DEP_1) | instid1(SALU_CYCLE_1)
	v_add3_u32 v17, s37, s36, v17
	global_load_i8 v16, v[16:17], off
	s_wait_loadcnt 0x0
	v_cvt_f32_i32_e32 v16, v16
	ds_store_b32 v24, v16
.LBB82_20:                              ;   in Loop: Header=BB82_13 Depth=1
	s_or_b32 exec_lo, exec_lo, s33
	s_wait_dscnt 0x0
	s_barrier_signal -1
	s_barrier_wait -1
	s_and_saveexec_b32 s33, s2
	s_cbranch_execz .LBB82_12
; %bb.21:                               ;   in Loop: Header=BB82_13 Depth=1
	s_and_saveexec_b32 s38, s17
	s_cbranch_execz .LBB82_24
; %bb.22:                               ;   in Loop: Header=BB82_13 Depth=1
	v_dual_mov_b32 v16, v21 :: v_dual_mov_b32 v17, v20
	s_mov_b64 s[36:37], s[28:29]
.LBB82_23:                              ;   Parent Loop BB82_13 Depth=1
                                        ; =>  This Inner Loop Header: Depth=2
	ds_load_b32 v18, v16
	ds_load_b32 v19, v17
	v_dual_add_nc_u32 v17, 4, v17 :: v_dual_add_nc_u32 v16, 4, v16
	s_add_nc_u64 s[36:37], s[36:37], -1
	s_delay_alu instid0(SALU_CYCLE_1)
	s_cmp_lg_u64 s[36:37], 0
	s_wait_dscnt 0x0
	v_fma_f32 v4, v18, v19, v4
	s_cbranch_scc1 .LBB82_23
.LBB82_24:                              ;   in Loop: Header=BB82_13 Depth=1
	s_or_b32 exec_lo, exec_lo, s38
	s_and_saveexec_b32 s38, s23
	s_cbranch_execz .LBB82_11
; %bb.25:                               ;   in Loop: Header=BB82_13 Depth=1
	v_dual_mov_b32 v16, v21 :: v_dual_mov_b32 v17, v22
	s_mov_b64 s[36:37], s[28:29]
.LBB82_26:                              ;   Parent Loop BB82_13 Depth=1
                                        ; =>  This Inner Loop Header: Depth=2
	ds_load_b32 v18, v16
	ds_load_b32 v19, v17
	v_dual_add_nc_u32 v17, 4, v17 :: v_dual_add_nc_u32 v16, 4, v16
	s_add_nc_u64 s[36:37], s[36:37], -1
	s_delay_alu instid0(SALU_CYCLE_1)
	s_cmp_lg_u64 s[36:37], 0
	s_wait_dscnt 0x0
	v_fma_f32 v5, v18, v19, v5
	s_cbranch_scc1 .LBB82_26
	s_branch .LBB82_11
.LBB82_27:
	v_mov_b64_e32 v[4:5], 0
.LBB82_28:
	s_and_b32 s2, s21, s2
	s_delay_alu instid0(SALU_CYCLE_1)
	s_and_saveexec_b32 s3, s2
	s_cbranch_execz .LBB82_48
; %bb.29:
	v_mad_nc_u64_u32 v[6:7], s28, s18, v[6:7]
	s_load_b64 s[2:3], s[0:1], 0x78
	s_cmp_neq_f32 s22, 0
	s_wait_xcnt 0x0
	s_mov_b32 s0, exec_lo
	s_cselect_b32 s4, -1, 0
	s_cmp_lg_u32 s16, 1
	s_cselect_b32 s1, -1, 0
	s_delay_alu instid0(VALU_DEP_1) | instskip(SKIP_1) | instid1(VALU_DEP_1)
	v_mad_u32 v7, s29, s18, v7
	s_wait_kmcnt 0x0
	v_mul_u64_e32 v[8:9], s[2:3], v[6:7]
	v_lshl_add_u64 v[6:7], v[6:7], 2, s[30:31]
	s_delay_alu instid0(VALU_DEP_2)
	v_lshl_add_u64 v[8:9], v[8:9], 2, s[30:31]
	v_cmpx_gt_i64_e64 s[6:7], v[2:3]
	s_cbranch_execz .LBB82_41
; %bb.30:
	s_and_b32 vcc_lo, exec_lo, s4
	s_cbranch_vccz .LBB82_36
; %bb.31:
	s_and_b32 vcc_lo, exec_lo, s1
	s_mov_b32 s5, -1
	s_cbranch_vccz .LBB82_33
; %bb.32:
	v_lshl_add_u64 v[10:11], v[2:3], 2, v[8:9]
	v_mul_f32_e32 v13, s20, v4
	s_mov_b32 s5, 0
	global_load_b32 v12, v[10:11], off
	s_wait_loadcnt 0x0
	v_fmac_f32_e32 v13, s22, v12
	global_store_b32 v[10:11], v13, off
.LBB82_33:
	s_and_not1_b32 vcc_lo, exec_lo, s5
	s_cbranch_vccnz .LBB82_35
; %bb.34:
	s_wait_xcnt 0x0
	v_mul_u64_e32 v[10:11], s[2:3], v[2:3]
	v_mul_f32_e32 v13, s20, v4
	s_delay_alu instid0(VALU_DEP_2)
	v_lshl_add_u64 v[10:11], v[10:11], 2, v[6:7]
	global_load_b32 v12, v[10:11], off
	s_wait_loadcnt 0x0
	v_fmac_f32_e32 v13, s22, v12
	global_store_b32 v[10:11], v13, off
.LBB82_35:
	s_cbranch_execz .LBB82_37
	s_branch .LBB82_41
.LBB82_36:
.LBB82_37:
	v_mul_f32_e32 v4, s20, v4
	s_and_b32 vcc_lo, exec_lo, s1
	s_mov_b32 s5, -1
	s_cbranch_vccz .LBB82_39
; %bb.38:
	s_wait_xcnt 0x0
	v_lshl_add_u64 v[10:11], v[2:3], 2, v[8:9]
	s_mov_b32 s5, 0
	global_store_b32 v[10:11], v4, off
.LBB82_39:
	s_and_not1_b32 vcc_lo, exec_lo, s5
	s_cbranch_vccnz .LBB82_41
; %bb.40:
	v_mul_u64_e32 v[2:3], s[2:3], v[2:3]
	s_delay_alu instid0(VALU_DEP_1)
	v_lshl_add_u64 v[2:3], v[2:3], 2, v[6:7]
	global_store_b32 v[2:3], v4, off
.LBB82_41:
	s_wait_xcnt 0x0
	s_or_b32 exec_lo, exec_lo, s0
	v_cmp_gt_i64_e32 vcc_lo, s[6:7], v[0:1]
	s_and_b32 exec_lo, exec_lo, vcc_lo
	s_cbranch_execz .LBB82_48
; %bb.42:
	v_cndmask_b32_e64 v2, 0, 1, s1
	s_and_not1_b32 vcc_lo, exec_lo, s4
	s_delay_alu instid0(VALU_DEP_1)
	v_cmp_ne_u32_e64 s0, 1, v2
	s_cbranch_vccnz .LBB82_49
; %bb.43:
	s_and_b32 vcc_lo, exec_lo, s0
	s_mov_b32 s0, -1
	s_cbranch_vccnz .LBB82_45
; %bb.44:
	v_lshl_add_u64 v[2:3], v[0:1], 2, v[8:9]
	v_mul_f32_e32 v10, s20, v5
	s_mov_b32 s0, 0
	global_load_b32 v4, v[2:3], off
	s_wait_loadcnt 0x0
	v_fmac_f32_e32 v10, s22, v4
	global_store_b32 v[2:3], v10, off
.LBB82_45:
	s_and_not1_b32 vcc_lo, exec_lo, s0
	s_cbranch_vccnz .LBB82_47
; %bb.46:
	s_wait_xcnt 0x0
	v_mul_u64_e32 v[2:3], s[2:3], v[0:1]
	v_mul_f32_e32 v10, s20, v5
	s_delay_alu instid0(VALU_DEP_2)
	v_lshl_add_u64 v[2:3], v[2:3], 2, v[6:7]
	global_load_b32 v4, v[2:3], off
	s_wait_loadcnt 0x0
	v_fmac_f32_e32 v10, s22, v4
	global_store_b32 v[2:3], v10, off
.LBB82_47:
	s_cbranch_execz .LBB82_50
.LBB82_48:
	s_endpgm
.LBB82_49:
.LBB82_50:
	s_wait_xcnt 0x0
	v_mul_f32_e32 v2, s20, v5
	s_and_not1_b32 vcc_lo, exec_lo, s1
	s_mov_b32 s0, -1
	s_cbranch_vccnz .LBB82_52
; %bb.51:
	v_lshl_add_u64 v[4:5], v[0:1], 2, v[8:9]
	s_mov_b32 s0, 0
	global_store_b32 v[4:5], v2, off
.LBB82_52:
	s_and_not1_b32 vcc_lo, exec_lo, s0
	s_cbranch_vccnz .LBB82_48
; %bb.53:
	v_mul_u64_e32 v[0:1], s[2:3], v[0:1]
	s_delay_alu instid0(VALU_DEP_1)
	v_lshl_add_u64 v[0:1], v[0:1], 2, v[6:7]
	global_store_b32 v[0:1], v2, off
	s_endpgm
	.section	.rodata,"a",@progbits
	.p2align	6, 0x0
	.amdhsa_kernel _ZN9rocsparseL31bsrmm_large_blockdim_kernel_extILj16ELj16ELj2EllaaffEEvb20rocsparse_direction_T3_S2_llNS_24const_host_device_scalarIT7_EEPKT2_PKS2_PKT4_S2_PKT5_llS5_PT6_ll16rocsparse_order_21rocsparse_index_base_b
		.amdhsa_group_segment_fixed_size 3072
		.amdhsa_private_segment_fixed_size 0
		.amdhsa_kernarg_size 148
		.amdhsa_user_sgpr_count 2
		.amdhsa_user_sgpr_dispatch_ptr 0
		.amdhsa_user_sgpr_queue_ptr 0
		.amdhsa_user_sgpr_kernarg_segment_ptr 1
		.amdhsa_user_sgpr_dispatch_id 0
		.amdhsa_user_sgpr_kernarg_preload_length 0
		.amdhsa_user_sgpr_kernarg_preload_offset 0
		.amdhsa_user_sgpr_private_segment_size 0
		.amdhsa_wavefront_size32 1
		.amdhsa_uses_dynamic_stack 0
		.amdhsa_enable_private_segment 0
		.amdhsa_system_sgpr_workgroup_id_x 1
		.amdhsa_system_sgpr_workgroup_id_y 1
		.amdhsa_system_sgpr_workgroup_id_z 0
		.amdhsa_system_sgpr_workgroup_info 0
		.amdhsa_system_vgpr_workitem_id 1
		.amdhsa_next_free_vgpr 30
		.amdhsa_next_free_sgpr 39
		.amdhsa_named_barrier_count 0
		.amdhsa_reserve_vcc 1
		.amdhsa_float_round_mode_32 0
		.amdhsa_float_round_mode_16_64 0
		.amdhsa_float_denorm_mode_32 3
		.amdhsa_float_denorm_mode_16_64 3
		.amdhsa_fp16_overflow 0
		.amdhsa_memory_ordered 1
		.amdhsa_forward_progress 1
		.amdhsa_inst_pref_size 15
		.amdhsa_round_robin_scheduling 0
		.amdhsa_exception_fp_ieee_invalid_op 0
		.amdhsa_exception_fp_denorm_src 0
		.amdhsa_exception_fp_ieee_div_zero 0
		.amdhsa_exception_fp_ieee_overflow 0
		.amdhsa_exception_fp_ieee_underflow 0
		.amdhsa_exception_fp_ieee_inexact 0
		.amdhsa_exception_int_div_zero 0
	.end_amdhsa_kernel
	.section	.text._ZN9rocsparseL31bsrmm_large_blockdim_kernel_extILj16ELj16ELj2EllaaffEEvb20rocsparse_direction_T3_S2_llNS_24const_host_device_scalarIT7_EEPKT2_PKS2_PKT4_S2_PKT5_llS5_PT6_ll16rocsparse_order_21rocsparse_index_base_b,"axG",@progbits,_ZN9rocsparseL31bsrmm_large_blockdim_kernel_extILj16ELj16ELj2EllaaffEEvb20rocsparse_direction_T3_S2_llNS_24const_host_device_scalarIT7_EEPKT2_PKS2_PKT4_S2_PKT5_llS5_PT6_ll16rocsparse_order_21rocsparse_index_base_b,comdat
.Lfunc_end82:
	.size	_ZN9rocsparseL31bsrmm_large_blockdim_kernel_extILj16ELj16ELj2EllaaffEEvb20rocsparse_direction_T3_S2_llNS_24const_host_device_scalarIT7_EEPKT2_PKS2_PKT4_S2_PKT5_llS5_PT6_ll16rocsparse_order_21rocsparse_index_base_b, .Lfunc_end82-_ZN9rocsparseL31bsrmm_large_blockdim_kernel_extILj16ELj16ELj2EllaaffEEvb20rocsparse_direction_T3_S2_llNS_24const_host_device_scalarIT7_EEPKT2_PKS2_PKT4_S2_PKT5_llS5_PT6_ll16rocsparse_order_21rocsparse_index_base_b
                                        ; -- End function
	.set _ZN9rocsparseL31bsrmm_large_blockdim_kernel_extILj16ELj16ELj2EllaaffEEvb20rocsparse_direction_T3_S2_llNS_24const_host_device_scalarIT7_EEPKT2_PKS2_PKT4_S2_PKT5_llS5_PT6_ll16rocsparse_order_21rocsparse_index_base_b.num_vgpr, 30
	.set _ZN9rocsparseL31bsrmm_large_blockdim_kernel_extILj16ELj16ELj2EllaaffEEvb20rocsparse_direction_T3_S2_llNS_24const_host_device_scalarIT7_EEPKT2_PKS2_PKT4_S2_PKT5_llS5_PT6_ll16rocsparse_order_21rocsparse_index_base_b.num_agpr, 0
	.set _ZN9rocsparseL31bsrmm_large_blockdim_kernel_extILj16ELj16ELj2EllaaffEEvb20rocsparse_direction_T3_S2_llNS_24const_host_device_scalarIT7_EEPKT2_PKS2_PKT4_S2_PKT5_llS5_PT6_ll16rocsparse_order_21rocsparse_index_base_b.numbered_sgpr, 39
	.set _ZN9rocsparseL31bsrmm_large_blockdim_kernel_extILj16ELj16ELj2EllaaffEEvb20rocsparse_direction_T3_S2_llNS_24const_host_device_scalarIT7_EEPKT2_PKS2_PKT4_S2_PKT5_llS5_PT6_ll16rocsparse_order_21rocsparse_index_base_b.num_named_barrier, 0
	.set _ZN9rocsparseL31bsrmm_large_blockdim_kernel_extILj16ELj16ELj2EllaaffEEvb20rocsparse_direction_T3_S2_llNS_24const_host_device_scalarIT7_EEPKT2_PKS2_PKT4_S2_PKT5_llS5_PT6_ll16rocsparse_order_21rocsparse_index_base_b.private_seg_size, 0
	.set _ZN9rocsparseL31bsrmm_large_blockdim_kernel_extILj16ELj16ELj2EllaaffEEvb20rocsparse_direction_T3_S2_llNS_24const_host_device_scalarIT7_EEPKT2_PKS2_PKT4_S2_PKT5_llS5_PT6_ll16rocsparse_order_21rocsparse_index_base_b.uses_vcc, 1
	.set _ZN9rocsparseL31bsrmm_large_blockdim_kernel_extILj16ELj16ELj2EllaaffEEvb20rocsparse_direction_T3_S2_llNS_24const_host_device_scalarIT7_EEPKT2_PKS2_PKT4_S2_PKT5_llS5_PT6_ll16rocsparse_order_21rocsparse_index_base_b.uses_flat_scratch, 0
	.set _ZN9rocsparseL31bsrmm_large_blockdim_kernel_extILj16ELj16ELj2EllaaffEEvb20rocsparse_direction_T3_S2_llNS_24const_host_device_scalarIT7_EEPKT2_PKS2_PKT4_S2_PKT5_llS5_PT6_ll16rocsparse_order_21rocsparse_index_base_b.has_dyn_sized_stack, 0
	.set _ZN9rocsparseL31bsrmm_large_blockdim_kernel_extILj16ELj16ELj2EllaaffEEvb20rocsparse_direction_T3_S2_llNS_24const_host_device_scalarIT7_EEPKT2_PKS2_PKT4_S2_PKT5_llS5_PT6_ll16rocsparse_order_21rocsparse_index_base_b.has_recursion, 0
	.set _ZN9rocsparseL31bsrmm_large_blockdim_kernel_extILj16ELj16ELj2EllaaffEEvb20rocsparse_direction_T3_S2_llNS_24const_host_device_scalarIT7_EEPKT2_PKS2_PKT4_S2_PKT5_llS5_PT6_ll16rocsparse_order_21rocsparse_index_base_b.has_indirect_call, 0
	.section	.AMDGPU.csdata,"",@progbits
; Kernel info:
; codeLenInByte = 1800
; TotalNumSgprs: 41
; NumVgprs: 30
; ScratchSize: 0
; MemoryBound: 0
; FloatMode: 240
; IeeeMode: 1
; LDSByteSize: 3072 bytes/workgroup (compile time only)
; SGPRBlocks: 0
; VGPRBlocks: 1
; NumSGPRsForWavesPerEU: 41
; NumVGPRsForWavesPerEU: 30
; NamedBarCnt: 0
; Occupancy: 16
; WaveLimiterHint : 1
; COMPUTE_PGM_RSRC2:SCRATCH_EN: 0
; COMPUTE_PGM_RSRC2:USER_SGPR: 2
; COMPUTE_PGM_RSRC2:TRAP_HANDLER: 0
; COMPUTE_PGM_RSRC2:TGID_X_EN: 1
; COMPUTE_PGM_RSRC2:TGID_Y_EN: 1
; COMPUTE_PGM_RSRC2:TGID_Z_EN: 0
; COMPUTE_PGM_RSRC2:TIDIG_COMP_CNT: 1
	.section	.text._ZN9rocsparseL31bsrmm_large_blockdim_kernel_extILj32ELj32ELj2EllaaffEEvb20rocsparse_direction_T3_S2_llNS_24const_host_device_scalarIT7_EEPKT2_PKS2_PKT4_S2_PKT5_llS5_PT6_ll16rocsparse_order_21rocsparse_index_base_b,"axG",@progbits,_ZN9rocsparseL31bsrmm_large_blockdim_kernel_extILj32ELj32ELj2EllaaffEEvb20rocsparse_direction_T3_S2_llNS_24const_host_device_scalarIT7_EEPKT2_PKS2_PKT4_S2_PKT5_llS5_PT6_ll16rocsparse_order_21rocsparse_index_base_b,comdat
	.globl	_ZN9rocsparseL31bsrmm_large_blockdim_kernel_extILj32ELj32ELj2EllaaffEEvb20rocsparse_direction_T3_S2_llNS_24const_host_device_scalarIT7_EEPKT2_PKS2_PKT4_S2_PKT5_llS5_PT6_ll16rocsparse_order_21rocsparse_index_base_b ; -- Begin function _ZN9rocsparseL31bsrmm_large_blockdim_kernel_extILj32ELj32ELj2EllaaffEEvb20rocsparse_direction_T3_S2_llNS_24const_host_device_scalarIT7_EEPKT2_PKS2_PKT4_S2_PKT5_llS5_PT6_ll16rocsparse_order_21rocsparse_index_base_b
	.p2align	8
	.type	_ZN9rocsparseL31bsrmm_large_blockdim_kernel_extILj32ELj32ELj2EllaaffEEvb20rocsparse_direction_T3_S2_llNS_24const_host_device_scalarIT7_EEPKT2_PKS2_PKT4_S2_PKT5_llS5_PT6_ll16rocsparse_order_21rocsparse_index_base_b,@function
_ZN9rocsparseL31bsrmm_large_blockdim_kernel_extILj32ELj32ELj2EllaaffEEvb20rocsparse_direction_T3_S2_llNS_24const_host_device_scalarIT7_EEPKT2_PKS2_PKT4_S2_PKT5_llS5_PT6_ll16rocsparse_order_21rocsparse_index_base_b: ; @_ZN9rocsparseL31bsrmm_large_blockdim_kernel_extILj32ELj32ELj2EllaaffEEvb20rocsparse_direction_T3_S2_llNS_24const_host_device_scalarIT7_EEPKT2_PKS2_PKT4_S2_PKT5_llS5_PT6_ll16rocsparse_order_21rocsparse_index_base_b
; %bb.0:
	s_clause 0x2
	s_load_b96 s[16:18], s[0:1], 0x88
	s_load_b64 s[20:21], s[0:1], 0x28
	s_load_b64 s[22:23], s[0:1], 0x68
	s_wait_kmcnt 0x0
	s_bitcmp1_b32 s18, 0
	s_cselect_b32 s2, -1, 0
	s_delay_alu instid0(SALU_CYCLE_1)
	s_and_b32 vcc_lo, exec_lo, s2
	s_xor_b32 s2, s2, -1
	s_cbranch_vccnz .LBB83_2
; %bb.1:
	s_load_b32 s20, s[20:21], 0x0
.LBB83_2:
	s_and_not1_b32 vcc_lo, exec_lo, s2
	s_cbranch_vccnz .LBB83_4
; %bb.3:
	s_load_b32 s22, s[22:23], 0x0
.LBB83_4:
	s_wait_kmcnt 0x0
	s_cmp_eq_f32 s20, 0
	s_cselect_b32 s2, -1, 0
	s_cmp_eq_f32 s22, 1.0
	s_cselect_b32 s3, -1, 0
	s_delay_alu instid0(SALU_CYCLE_1) | instskip(NEXT) | instid1(SALU_CYCLE_1)
	s_and_b32 s2, s2, s3
	s_and_b32 vcc_lo, exec_lo, s2
	s_cbranch_vccnz .LBB83_48
; %bb.5:
	s_clause 0x1
	s_load_b128 s[4:7], s[0:1], 0x8
	s_load_b64 s[2:3], s[0:1], 0x30
	s_bfe_u32 s8, ttmp6, 0x4000c
	s_and_b32 s9, ttmp6, 15
	s_add_co_i32 s8, s8, 1
	s_mov_b64 s[24:25], 0
	s_mul_i32 s10, ttmp9, s8
	s_getreg_b32 s8, hwreg(HW_REG_IB_STS2, 6, 4)
	s_add_co_i32 s9, s9, s10
	s_cmp_eq_u32 s8, 0
	s_mov_b64 s[26:27], 0
	s_cselect_b32 s18, ttmp9, s9
	s_delay_alu instid0(SALU_CYCLE_1)
	s_ashr_i32 s19, s18, 31
	s_wait_kmcnt 0x0
	v_cmp_le_i64_e64 s9, s[4:5], s[18:19]
	v_cmp_gt_i64_e64 s21, s[4:5], s[18:19]
	s_and_b32 vcc_lo, exec_lo, s9
	s_cbranch_vccnz .LBB83_7
; %bb.6:
	s_lshl_b64 s[4:5], s[18:19], 3
	s_mov_b32 s11, 0
	s_add_nc_u64 s[4:5], s[2:3], s[4:5]
	s_mov_b32 s10, s17
	s_load_b64 s[4:5], s[4:5], 0x0
	s_wait_kmcnt 0x0
	s_sub_nc_u64 s[26:27], s[4:5], s[10:11]
.LBB83_7:
	s_and_not1_b32 vcc_lo, exec_lo, s21
	s_cbranch_vccnz .LBB83_9
; %bb.8:
	s_lshl_b64 s[4:5], s[18:19], 3
	s_delay_alu instid0(SALU_CYCLE_1)
	s_add_nc_u64 s[2:3], s[2:3], s[4:5]
	s_mov_b32 s5, 0
	s_load_b64 s[2:3], s[2:3], 0x8
	s_mov_b32 s4, s17
	s_wait_kmcnt 0x0
	s_sub_nc_u64 s[24:25], s[2:3], s[4:5]
.LBB83_9:
	s_bfe_u32 s2, ttmp6, 0x40010
	s_clause 0x1
	s_load_b64 s[28:29], s[0:1], 0x48
	s_load_b64 s[30:31], s[0:1], 0x70
	s_add_co_i32 s2, s2, 1
	s_bfe_u32 s3, ttmp6, 0x40004
	s_mul_i32 s2, ttmp7, s2
	v_bfe_u32 v12, v0, 10, 10
	s_add_co_i32 s3, s3, s2
	s_cmp_eq_u32 s8, 0
	v_and_b32_e32 v6, 0x3ff, v0
	s_cselect_b32 s2, ttmp7, s3
	v_cmp_ge_i64_e64 s5, s[26:27], s[24:25]
	v_lshl_add_u32 v2, s2, 6, v12
	v_mov_b32_e32 v3, 0
	s_mov_b32 s35, 0
	s_delay_alu instid0(VALU_DEP_1)
	v_dual_mov_b32 v7, v3 :: v_dual_add_nc_u32 v0, 32, v2
	v_mov_b32_e32 v1, v3
	v_cmp_gt_i64_e64 s3, s[6:7], v[2:3]
	s_and_b32 vcc_lo, exec_lo, s5
	s_wait_kmcnt 0x0
	v_cmp_gt_i64_e64 s2, s[28:29], v[6:7]
	v_cmp_gt_i64_e64 s4, s[6:7], v[0:1]
	s_cbranch_vccnz .LBB83_27
; %bb.10:
	s_clause 0x2
	s_load_b128 s[8:11], s[0:1], 0x38
	s_load_b128 s[12:15], s[0:1], 0x50
	s_load_b64 s[36:37], s[0:1], 0x0
	v_dual_mov_b32 v13, v3 :: v_dual_lshlrev_b32 v19, 7, v6
	v_lshl_add_u32 v18, v12, 2, 0x2000
	v_dual_lshlrev_b32 v20, 7, v12 :: v_dual_lshlrev_b32 v23, 2, v6
	s_delay_alu instid0(VALU_DEP_3) | instskip(SKIP_2) | instid1(VALU_DEP_4)
	v_cmp_gt_i64_e32 vcc_lo, s[28:29], v[12:13]
	v_cmp_gt_i64_e64 s23, s[28:29], 0
	v_mov_b64_e32 v[4:5], 0
	v_dual_add_nc_u32 v24, v18, v19 :: v_dual_add_nc_u32 v23, v23, v20
	s_mov_b32 s34, s17
	s_and_b32 s19, s2, vcc_lo
	s_wait_kmcnt 0x0
	v_mad_nc_u64_u32 v[14:15], s28, v12, s[10:11]
	v_mad_nc_u64_u32 v[16:17], s28, v6, s[10:11]
	v_mul_u64_e32 v[8:9], s[14:15], v[2:3]
	v_mul_u64_e32 v[10:11], s[14:15], v[0:1]
	s_bitcmp1_b32 s36, 0
	s_mul_u64 s[10:11], s[28:29], s[28:29]
	s_cselect_b32 s5, -1, 0
	s_cmp_eq_u32 s37, 0
	s_cselect_b32 vcc_lo, -1, 0
	s_and_b32 s17, s3, s23
	s_delay_alu instid0(VALU_DEP_4) | instskip(NEXT) | instid1(VALU_DEP_4)
	v_mad_u32 v15, s29, v12, v15
	v_mad_u32 v17, s29, v6, v17
	s_and_b32 s23, s4, s23
	s_delay_alu instid0(VALU_DEP_2) | instskip(NEXT) | instid1(VALU_DEP_2)
	v_add_nc_u64_e32 v[14:15], v[14:15], v[6:7]
	v_add_nc_u64_e32 v[16:17], v[16:17], v[12:13]
	v_add_nc_u64_e32 v[12:13], s[12:13], v[6:7]
	v_add_nc_u32_e32 v21, 0x2000, v19
	s_delay_alu instid0(VALU_DEP_3) | instskip(NEXT) | instid1(VALU_DEP_4)
	v_dual_cndmask_b32 v15, v15, v17 :: v_dual_add_nc_u32 v22, 0x1000, v20
	v_cndmask_b32_e32 v14, v14, v16, vcc_lo
	s_branch .LBB83_13
.LBB83_11:                              ;   in Loop: Header=BB83_13 Depth=1
	s_or_b32 exec_lo, exec_lo, s38
.LBB83_12:                              ;   in Loop: Header=BB83_13 Depth=1
	s_delay_alu instid0(SALU_CYCLE_1) | instskip(SKIP_1) | instid1(SALU_CYCLE_1)
	s_or_b32 exec_lo, exec_lo, s33
	s_add_nc_u64 s[26:27], s[26:27], 1
	v_cmp_ge_i64_e64 s33, s[26:27], s[24:25]
	s_barrier_signal -1
	s_barrier_wait -1
	s_and_b32 vcc_lo, exec_lo, s33
	s_cbranch_vccnz .LBB83_28
.LBB83_13:                              ; =>This Loop Header: Depth=1
                                        ;     Child Loop BB83_23 Depth 2
                                        ;     Child Loop BB83_26 Depth 2
	s_and_saveexec_b32 s33, s2
	s_cbranch_execz .LBB83_18
; %bb.14:                               ;   in Loop: Header=BB83_13 Depth=1
	s_lshl_b64 s[36:37], s[26:27], 3
	s_delay_alu instid0(SALU_CYCLE_1) | instskip(SKIP_3) | instid1(SALU_CYCLE_1)
	s_add_nc_u64 s[36:37], s[8:9], s[36:37]
	s_load_b64 s[36:37], s[36:37], 0x0
	s_wait_kmcnt 0x0
	s_sub_nc_u64 s[36:37], s[36:37], s[34:35]
	v_mad_nc_u64_u32 v[26:27], s36, s28, v[6:7]
	s_mul_i32 s37, s37, s28
	s_mul_i32 s38, s36, s29
	s_delay_alu instid0(SALU_CYCLE_1) | instskip(NEXT) | instid1(VALU_DEP_1)
	s_add_co_i32 s38, s38, s37
	v_mad_nc_u64_u32 v[16:17], v26, s14, s[12:13]
	s_delay_alu instid0(VALU_DEP_2) | instskip(NEXT) | instid1(VALU_DEP_1)
	v_add_nc_u32_e32 v18, s38, v27
	v_mad_u32 v17, v18, s14, v17
	v_mad_nc_u64_u32 v[18:19], s36, s28, v[12:13]
	s_delay_alu instid0(VALU_DEP_2) | instskip(NEXT) | instid1(VALU_DEP_2)
	v_mad_u32 v17, v26, s15, v17
	v_add_nc_u32_e32 v19, s38, v19
	s_and_saveexec_b32 s36, s3
	s_cbranch_execz .LBB83_16
; %bb.15:                               ;   in Loop: Header=BB83_13 Depth=1
	s_delay_alu instid0(VALU_DEP_2) | instskip(NEXT) | instid1(VALU_DEP_2)
	v_add_nc_u64_e32 v[26:27], v[16:17], v[2:3]
	v_add_nc_u64_e32 v[28:29], v[18:19], v[8:9]
	s_delay_alu instid0(VALU_DEP_1)
	v_dual_cndmask_b32 v27, v27, v29, s5 :: v_dual_cndmask_b32 v26, v26, v28, s5
	global_load_i8 v25, v[26:27], off
	s_wait_loadcnt 0x0
	v_cvt_f32_i32_e32 v25, v25
	ds_store_b32 v23, v25
.LBB83_16:                              ;   in Loop: Header=BB83_13 Depth=1
	s_or_b32 exec_lo, exec_lo, s36
	s_delay_alu instid0(SALU_CYCLE_1)
	s_and_b32 exec_lo, exec_lo, s4
	s_cbranch_execz .LBB83_18
; %bb.17:                               ;   in Loop: Header=BB83_13 Depth=1
	s_delay_alu instid0(VALU_DEP_3) | instskip(NEXT) | instid1(VALU_DEP_3)
	v_add_nc_u64_e32 v[18:19], v[18:19], v[10:11]
	v_add_nc_u64_e32 v[16:17], v[16:17], v[0:1]
	s_delay_alu instid0(VALU_DEP_1)
	v_dual_cndmask_b32 v17, v17, v19, s5 :: v_dual_cndmask_b32 v16, v16, v18, s5
	global_load_i8 v16, v[16:17], off
	s_wait_loadcnt 0x0
	v_cvt_f32_i32_e32 v16, v16
	ds_store_b32 v23, v16 offset:4096
.LBB83_18:                              ;   in Loop: Header=BB83_13 Depth=1
	s_or_b32 exec_lo, exec_lo, s33
	s_and_saveexec_b32 s33, s19
	s_cbranch_execz .LBB83_20
; %bb.19:                               ;   in Loop: Header=BB83_13 Depth=1
	v_mad_nc_u64_u32 v[16:17], s10, s26, v[14:15]
	s_mul_i32 s36, s11, s26
	s_mul_i32 s37, s10, s27
	s_delay_alu instid0(VALU_DEP_1) | instid1(SALU_CYCLE_1)
	v_add3_u32 v17, s37, s36, v17
	global_load_i8 v16, v[16:17], off
	s_wait_loadcnt 0x0
	v_cvt_f32_i32_e32 v16, v16
	ds_store_b32 v24, v16
.LBB83_20:                              ;   in Loop: Header=BB83_13 Depth=1
	s_or_b32 exec_lo, exec_lo, s33
	s_wait_dscnt 0x0
	s_barrier_signal -1
	s_barrier_wait -1
	s_and_saveexec_b32 s33, s2
	s_cbranch_execz .LBB83_12
; %bb.21:                               ;   in Loop: Header=BB83_13 Depth=1
	s_and_saveexec_b32 s38, s17
	s_cbranch_execz .LBB83_24
; %bb.22:                               ;   in Loop: Header=BB83_13 Depth=1
	v_dual_mov_b32 v16, v21 :: v_dual_mov_b32 v17, v20
	s_mov_b64 s[36:37], s[28:29]
.LBB83_23:                              ;   Parent Loop BB83_13 Depth=1
                                        ; =>  This Inner Loop Header: Depth=2
	ds_load_b32 v18, v16
	ds_load_b32 v19, v17
	v_dual_add_nc_u32 v17, 4, v17 :: v_dual_add_nc_u32 v16, 4, v16
	s_add_nc_u64 s[36:37], s[36:37], -1
	s_delay_alu instid0(SALU_CYCLE_1)
	s_cmp_lg_u64 s[36:37], 0
	s_wait_dscnt 0x0
	v_fma_f32 v4, v18, v19, v4
	s_cbranch_scc1 .LBB83_23
.LBB83_24:                              ;   in Loop: Header=BB83_13 Depth=1
	s_or_b32 exec_lo, exec_lo, s38
	s_and_saveexec_b32 s38, s23
	s_cbranch_execz .LBB83_11
; %bb.25:                               ;   in Loop: Header=BB83_13 Depth=1
	v_dual_mov_b32 v16, v21 :: v_dual_mov_b32 v17, v22
	s_mov_b64 s[36:37], s[28:29]
.LBB83_26:                              ;   Parent Loop BB83_13 Depth=1
                                        ; =>  This Inner Loop Header: Depth=2
	ds_load_b32 v18, v16
	ds_load_b32 v19, v17
	v_dual_add_nc_u32 v17, 4, v17 :: v_dual_add_nc_u32 v16, 4, v16
	s_add_nc_u64 s[36:37], s[36:37], -1
	s_delay_alu instid0(SALU_CYCLE_1)
	s_cmp_lg_u64 s[36:37], 0
	s_wait_dscnt 0x0
	v_fma_f32 v5, v18, v19, v5
	s_cbranch_scc1 .LBB83_26
	s_branch .LBB83_11
.LBB83_27:
	v_mov_b64_e32 v[4:5], 0
.LBB83_28:
	s_and_b32 s2, s21, s2
	s_delay_alu instid0(SALU_CYCLE_1)
	s_and_saveexec_b32 s3, s2
	s_cbranch_execz .LBB83_48
; %bb.29:
	v_mad_nc_u64_u32 v[6:7], s28, s18, v[6:7]
	s_load_b64 s[2:3], s[0:1], 0x78
	s_cmp_neq_f32 s22, 0
	s_wait_xcnt 0x0
	s_mov_b32 s0, exec_lo
	s_cselect_b32 s4, -1, 0
	s_cmp_lg_u32 s16, 1
	s_cselect_b32 s1, -1, 0
	s_delay_alu instid0(VALU_DEP_1) | instskip(SKIP_1) | instid1(VALU_DEP_1)
	v_mad_u32 v7, s29, s18, v7
	s_wait_kmcnt 0x0
	v_mul_u64_e32 v[8:9], s[2:3], v[6:7]
	v_lshl_add_u64 v[6:7], v[6:7], 2, s[30:31]
	s_delay_alu instid0(VALU_DEP_2)
	v_lshl_add_u64 v[8:9], v[8:9], 2, s[30:31]
	v_cmpx_gt_i64_e64 s[6:7], v[2:3]
	s_cbranch_execz .LBB83_41
; %bb.30:
	s_and_b32 vcc_lo, exec_lo, s4
	s_cbranch_vccz .LBB83_36
; %bb.31:
	s_and_b32 vcc_lo, exec_lo, s1
	s_mov_b32 s5, -1
	s_cbranch_vccz .LBB83_33
; %bb.32:
	v_lshl_add_u64 v[10:11], v[2:3], 2, v[8:9]
	v_mul_f32_e32 v13, s20, v4
	s_mov_b32 s5, 0
	global_load_b32 v12, v[10:11], off
	s_wait_loadcnt 0x0
	v_fmac_f32_e32 v13, s22, v12
	global_store_b32 v[10:11], v13, off
.LBB83_33:
	s_and_not1_b32 vcc_lo, exec_lo, s5
	s_cbranch_vccnz .LBB83_35
; %bb.34:
	s_wait_xcnt 0x0
	v_mul_u64_e32 v[10:11], s[2:3], v[2:3]
	v_mul_f32_e32 v13, s20, v4
	s_delay_alu instid0(VALU_DEP_2)
	v_lshl_add_u64 v[10:11], v[10:11], 2, v[6:7]
	global_load_b32 v12, v[10:11], off
	s_wait_loadcnt 0x0
	v_fmac_f32_e32 v13, s22, v12
	global_store_b32 v[10:11], v13, off
.LBB83_35:
	s_cbranch_execz .LBB83_37
	s_branch .LBB83_41
.LBB83_36:
.LBB83_37:
	v_mul_f32_e32 v4, s20, v4
	s_and_b32 vcc_lo, exec_lo, s1
	s_mov_b32 s5, -1
	s_cbranch_vccz .LBB83_39
; %bb.38:
	s_wait_xcnt 0x0
	v_lshl_add_u64 v[10:11], v[2:3], 2, v[8:9]
	s_mov_b32 s5, 0
	global_store_b32 v[10:11], v4, off
.LBB83_39:
	s_and_not1_b32 vcc_lo, exec_lo, s5
	s_cbranch_vccnz .LBB83_41
; %bb.40:
	v_mul_u64_e32 v[2:3], s[2:3], v[2:3]
	s_delay_alu instid0(VALU_DEP_1)
	v_lshl_add_u64 v[2:3], v[2:3], 2, v[6:7]
	global_store_b32 v[2:3], v4, off
.LBB83_41:
	s_wait_xcnt 0x0
	s_or_b32 exec_lo, exec_lo, s0
	v_cmp_gt_i64_e32 vcc_lo, s[6:7], v[0:1]
	s_and_b32 exec_lo, exec_lo, vcc_lo
	s_cbranch_execz .LBB83_48
; %bb.42:
	v_cndmask_b32_e64 v2, 0, 1, s1
	s_and_not1_b32 vcc_lo, exec_lo, s4
	s_delay_alu instid0(VALU_DEP_1)
	v_cmp_ne_u32_e64 s0, 1, v2
	s_cbranch_vccnz .LBB83_49
; %bb.43:
	s_and_b32 vcc_lo, exec_lo, s0
	s_mov_b32 s0, -1
	s_cbranch_vccnz .LBB83_45
; %bb.44:
	v_lshl_add_u64 v[2:3], v[0:1], 2, v[8:9]
	v_mul_f32_e32 v10, s20, v5
	s_mov_b32 s0, 0
	global_load_b32 v4, v[2:3], off
	s_wait_loadcnt 0x0
	v_fmac_f32_e32 v10, s22, v4
	global_store_b32 v[2:3], v10, off
.LBB83_45:
	s_and_not1_b32 vcc_lo, exec_lo, s0
	s_cbranch_vccnz .LBB83_47
; %bb.46:
	s_wait_xcnt 0x0
	v_mul_u64_e32 v[2:3], s[2:3], v[0:1]
	v_mul_f32_e32 v10, s20, v5
	s_delay_alu instid0(VALU_DEP_2)
	v_lshl_add_u64 v[2:3], v[2:3], 2, v[6:7]
	global_load_b32 v4, v[2:3], off
	s_wait_loadcnt 0x0
	v_fmac_f32_e32 v10, s22, v4
	global_store_b32 v[2:3], v10, off
.LBB83_47:
	s_cbranch_execz .LBB83_50
.LBB83_48:
	s_endpgm
.LBB83_49:
.LBB83_50:
	s_wait_xcnt 0x0
	v_mul_f32_e32 v2, s20, v5
	s_and_not1_b32 vcc_lo, exec_lo, s1
	s_mov_b32 s0, -1
	s_cbranch_vccnz .LBB83_52
; %bb.51:
	v_lshl_add_u64 v[4:5], v[0:1], 2, v[8:9]
	s_mov_b32 s0, 0
	global_store_b32 v[4:5], v2, off
.LBB83_52:
	s_and_not1_b32 vcc_lo, exec_lo, s0
	s_cbranch_vccnz .LBB83_48
; %bb.53:
	v_mul_u64_e32 v[0:1], s[2:3], v[0:1]
	s_delay_alu instid0(VALU_DEP_1)
	v_lshl_add_u64 v[0:1], v[0:1], 2, v[6:7]
	global_store_b32 v[0:1], v2, off
	s_endpgm
	.section	.rodata,"a",@progbits
	.p2align	6, 0x0
	.amdhsa_kernel _ZN9rocsparseL31bsrmm_large_blockdim_kernel_extILj32ELj32ELj2EllaaffEEvb20rocsparse_direction_T3_S2_llNS_24const_host_device_scalarIT7_EEPKT2_PKS2_PKT4_S2_PKT5_llS5_PT6_ll16rocsparse_order_21rocsparse_index_base_b
		.amdhsa_group_segment_fixed_size 12288
		.amdhsa_private_segment_fixed_size 0
		.amdhsa_kernarg_size 148
		.amdhsa_user_sgpr_count 2
		.amdhsa_user_sgpr_dispatch_ptr 0
		.amdhsa_user_sgpr_queue_ptr 0
		.amdhsa_user_sgpr_kernarg_segment_ptr 1
		.amdhsa_user_sgpr_dispatch_id 0
		.amdhsa_user_sgpr_kernarg_preload_length 0
		.amdhsa_user_sgpr_kernarg_preload_offset 0
		.amdhsa_user_sgpr_private_segment_size 0
		.amdhsa_wavefront_size32 1
		.amdhsa_uses_dynamic_stack 0
		.amdhsa_enable_private_segment 0
		.amdhsa_system_sgpr_workgroup_id_x 1
		.amdhsa_system_sgpr_workgroup_id_y 1
		.amdhsa_system_sgpr_workgroup_id_z 0
		.amdhsa_system_sgpr_workgroup_info 0
		.amdhsa_system_vgpr_workitem_id 1
		.amdhsa_next_free_vgpr 30
		.amdhsa_next_free_sgpr 39
		.amdhsa_named_barrier_count 0
		.amdhsa_reserve_vcc 1
		.amdhsa_float_round_mode_32 0
		.amdhsa_float_round_mode_16_64 0
		.amdhsa_float_denorm_mode_32 3
		.amdhsa_float_denorm_mode_16_64 3
		.amdhsa_fp16_overflow 0
		.amdhsa_memory_ordered 1
		.amdhsa_forward_progress 1
		.amdhsa_inst_pref_size 15
		.amdhsa_round_robin_scheduling 0
		.amdhsa_exception_fp_ieee_invalid_op 0
		.amdhsa_exception_fp_denorm_src 0
		.amdhsa_exception_fp_ieee_div_zero 0
		.amdhsa_exception_fp_ieee_overflow 0
		.amdhsa_exception_fp_ieee_underflow 0
		.amdhsa_exception_fp_ieee_inexact 0
		.amdhsa_exception_int_div_zero 0
	.end_amdhsa_kernel
	.section	.text._ZN9rocsparseL31bsrmm_large_blockdim_kernel_extILj32ELj32ELj2EllaaffEEvb20rocsparse_direction_T3_S2_llNS_24const_host_device_scalarIT7_EEPKT2_PKS2_PKT4_S2_PKT5_llS5_PT6_ll16rocsparse_order_21rocsparse_index_base_b,"axG",@progbits,_ZN9rocsparseL31bsrmm_large_blockdim_kernel_extILj32ELj32ELj2EllaaffEEvb20rocsparse_direction_T3_S2_llNS_24const_host_device_scalarIT7_EEPKT2_PKS2_PKT4_S2_PKT5_llS5_PT6_ll16rocsparse_order_21rocsparse_index_base_b,comdat
.Lfunc_end83:
	.size	_ZN9rocsparseL31bsrmm_large_blockdim_kernel_extILj32ELj32ELj2EllaaffEEvb20rocsparse_direction_T3_S2_llNS_24const_host_device_scalarIT7_EEPKT2_PKS2_PKT4_S2_PKT5_llS5_PT6_ll16rocsparse_order_21rocsparse_index_base_b, .Lfunc_end83-_ZN9rocsparseL31bsrmm_large_blockdim_kernel_extILj32ELj32ELj2EllaaffEEvb20rocsparse_direction_T3_S2_llNS_24const_host_device_scalarIT7_EEPKT2_PKS2_PKT4_S2_PKT5_llS5_PT6_ll16rocsparse_order_21rocsparse_index_base_b
                                        ; -- End function
	.set _ZN9rocsparseL31bsrmm_large_blockdim_kernel_extILj32ELj32ELj2EllaaffEEvb20rocsparse_direction_T3_S2_llNS_24const_host_device_scalarIT7_EEPKT2_PKS2_PKT4_S2_PKT5_llS5_PT6_ll16rocsparse_order_21rocsparse_index_base_b.num_vgpr, 30
	.set _ZN9rocsparseL31bsrmm_large_blockdim_kernel_extILj32ELj32ELj2EllaaffEEvb20rocsparse_direction_T3_S2_llNS_24const_host_device_scalarIT7_EEPKT2_PKS2_PKT4_S2_PKT5_llS5_PT6_ll16rocsparse_order_21rocsparse_index_base_b.num_agpr, 0
	.set _ZN9rocsparseL31bsrmm_large_blockdim_kernel_extILj32ELj32ELj2EllaaffEEvb20rocsparse_direction_T3_S2_llNS_24const_host_device_scalarIT7_EEPKT2_PKS2_PKT4_S2_PKT5_llS5_PT6_ll16rocsparse_order_21rocsparse_index_base_b.numbered_sgpr, 39
	.set _ZN9rocsparseL31bsrmm_large_blockdim_kernel_extILj32ELj32ELj2EllaaffEEvb20rocsparse_direction_T3_S2_llNS_24const_host_device_scalarIT7_EEPKT2_PKS2_PKT4_S2_PKT5_llS5_PT6_ll16rocsparse_order_21rocsparse_index_base_b.num_named_barrier, 0
	.set _ZN9rocsparseL31bsrmm_large_blockdim_kernel_extILj32ELj32ELj2EllaaffEEvb20rocsparse_direction_T3_S2_llNS_24const_host_device_scalarIT7_EEPKT2_PKS2_PKT4_S2_PKT5_llS5_PT6_ll16rocsparse_order_21rocsparse_index_base_b.private_seg_size, 0
	.set _ZN9rocsparseL31bsrmm_large_blockdim_kernel_extILj32ELj32ELj2EllaaffEEvb20rocsparse_direction_T3_S2_llNS_24const_host_device_scalarIT7_EEPKT2_PKS2_PKT4_S2_PKT5_llS5_PT6_ll16rocsparse_order_21rocsparse_index_base_b.uses_vcc, 1
	.set _ZN9rocsparseL31bsrmm_large_blockdim_kernel_extILj32ELj32ELj2EllaaffEEvb20rocsparse_direction_T3_S2_llNS_24const_host_device_scalarIT7_EEPKT2_PKS2_PKT4_S2_PKT5_llS5_PT6_ll16rocsparse_order_21rocsparse_index_base_b.uses_flat_scratch, 0
	.set _ZN9rocsparseL31bsrmm_large_blockdim_kernel_extILj32ELj32ELj2EllaaffEEvb20rocsparse_direction_T3_S2_llNS_24const_host_device_scalarIT7_EEPKT2_PKS2_PKT4_S2_PKT5_llS5_PT6_ll16rocsparse_order_21rocsparse_index_base_b.has_dyn_sized_stack, 0
	.set _ZN9rocsparseL31bsrmm_large_blockdim_kernel_extILj32ELj32ELj2EllaaffEEvb20rocsparse_direction_T3_S2_llNS_24const_host_device_scalarIT7_EEPKT2_PKS2_PKT4_S2_PKT5_llS5_PT6_ll16rocsparse_order_21rocsparse_index_base_b.has_recursion, 0
	.set _ZN9rocsparseL31bsrmm_large_blockdim_kernel_extILj32ELj32ELj2EllaaffEEvb20rocsparse_direction_T3_S2_llNS_24const_host_device_scalarIT7_EEPKT2_PKS2_PKT4_S2_PKT5_llS5_PT6_ll16rocsparse_order_21rocsparse_index_base_b.has_indirect_call, 0
	.section	.AMDGPU.csdata,"",@progbits
; Kernel info:
; codeLenInByte = 1800
; TotalNumSgprs: 41
; NumVgprs: 30
; ScratchSize: 0
; MemoryBound: 0
; FloatMode: 240
; IeeeMode: 1
; LDSByteSize: 12288 bytes/workgroup (compile time only)
; SGPRBlocks: 0
; VGPRBlocks: 1
; NumSGPRsForWavesPerEU: 41
; NumVGPRsForWavesPerEU: 30
; NamedBarCnt: 0
; Occupancy: 16
; WaveLimiterHint : 1
; COMPUTE_PGM_RSRC2:SCRATCH_EN: 0
; COMPUTE_PGM_RSRC2:USER_SGPR: 2
; COMPUTE_PGM_RSRC2:TRAP_HANDLER: 0
; COMPUTE_PGM_RSRC2:TGID_X_EN: 1
; COMPUTE_PGM_RSRC2:TGID_Y_EN: 1
; COMPUTE_PGM_RSRC2:TGID_Z_EN: 0
; COMPUTE_PGM_RSRC2:TIDIG_COMP_CNT: 1
	.section	.AMDGPU.gpr_maximums,"",@progbits
	.set amdgpu.max_num_vgpr, 0
	.set amdgpu.max_num_agpr, 0
	.set amdgpu.max_num_sgpr, 0
	.section	.AMDGPU.csdata,"",@progbits
	.type	__hip_cuid_a69b008eae1a12cc,@object ; @__hip_cuid_a69b008eae1a12cc
	.section	.bss,"aw",@nobits
	.globl	__hip_cuid_a69b008eae1a12cc
__hip_cuid_a69b008eae1a12cc:
	.byte	0                               ; 0x0
	.size	__hip_cuid_a69b008eae1a12cc, 1

	.ident	"AMD clang version 22.0.0git (https://github.com/RadeonOpenCompute/llvm-project roc-7.2.4 26084 f58b06dce1f9c15707c5f808fd002e18c2accf7e)"
	.section	".note.GNU-stack","",@progbits
	.addrsig
	.addrsig_sym __hip_cuid_a69b008eae1a12cc
	.amdgpu_metadata
---
amdhsa.kernels:
  - .args:
      - .offset:         0
        .size:           1
        .value_kind:     by_value
      - .offset:         4
        .size:           4
        .value_kind:     by_value
      - .offset:         8
        .size:           4
        .value_kind:     by_value
      - .offset:         12
        .size:           4
        .value_kind:     by_value
      - .offset:         16
        .size:           8
        .value_kind:     by_value
      - .offset:         24
        .size:           8
        .value_kind:     by_value
      - .offset:         32
        .size:           8
        .value_kind:     by_value
      - .actual_access:  read_only
        .address_space:  global
        .offset:         40
        .size:           8
        .value_kind:     global_buffer
      - .actual_access:  read_only
        .address_space:  global
        .offset:         48
        .size:           8
        .value_kind:     global_buffer
      - .actual_access:  read_only
        .address_space:  global
        .offset:         56
        .size:           8
        .value_kind:     global_buffer
      - .offset:         64
        .size:           4
        .value_kind:     by_value
      - .actual_access:  read_only
        .address_space:  global
        .offset:         72
        .size:           8
        .value_kind:     global_buffer
      - .offset:         80
        .size:           8
        .value_kind:     by_value
      - .offset:         88
        .size:           8
        .value_kind:     by_value
      - .offset:         96
        .size:           8
        .value_kind:     by_value
      - .address_space:  global
        .offset:         104
        .size:           8
        .value_kind:     global_buffer
      - .offset:         112
        .size:           8
        .value_kind:     by_value
      - .offset:         120
        .size:           8
        .value_kind:     by_value
      - .offset:         128
        .size:           4
        .value_kind:     by_value
      - .offset:         132
        .size:           4
        .value_kind:     by_value
      - .offset:         136
        .size:           1
        .value_kind:     by_value
    .group_segment_fixed_size: 768
    .kernarg_segment_align: 8
    .kernarg_segment_size: 140
    .language:       OpenCL C
    .language_version:
      - 2
      - 0
    .max_flat_workgroup_size: 64
    .name:           _ZN9rocsparseL31bsrmm_large_blockdim_kernel_extILj8ELj8ELj2EiiffffEEvb20rocsparse_direction_T3_S2_llNS_24const_host_device_scalarIT7_EEPKT2_PKS2_PKT4_S2_PKT5_llS5_PT6_ll16rocsparse_order_21rocsparse_index_base_b
    .private_segment_fixed_size: 0
    .sgpr_count:     32
    .sgpr_spill_count: 0
    .symbol:         _ZN9rocsparseL31bsrmm_large_blockdim_kernel_extILj8ELj8ELj2EiiffffEEvb20rocsparse_direction_T3_S2_llNS_24const_host_device_scalarIT7_EEPKT2_PKS2_PKT4_S2_PKT5_llS5_PT6_ll16rocsparse_order_21rocsparse_index_base_b.kd
    .uniform_work_group_size: 1
    .uses_dynamic_stack: false
    .vgpr_count:     26
    .vgpr_spill_count: 0
    .wavefront_size: 32
  - .args:
      - .offset:         0
        .size:           1
        .value_kind:     by_value
      - .offset:         4
        .size:           4
        .value_kind:     by_value
      - .offset:         8
        .size:           4
        .value_kind:     by_value
      - .offset:         12
        .size:           4
        .value_kind:     by_value
      - .offset:         16
        .size:           8
        .value_kind:     by_value
      - .offset:         24
        .size:           8
        .value_kind:     by_value
      - .offset:         32
        .size:           8
        .value_kind:     by_value
      - .actual_access:  read_only
        .address_space:  global
        .offset:         40
        .size:           8
        .value_kind:     global_buffer
      - .actual_access:  read_only
        .address_space:  global
        .offset:         48
        .size:           8
        .value_kind:     global_buffer
      - .actual_access:  read_only
        .address_space:  global
        .offset:         56
        .size:           8
        .value_kind:     global_buffer
      - .offset:         64
        .size:           4
        .value_kind:     by_value
      - .actual_access:  read_only
        .address_space:  global
        .offset:         72
        .size:           8
        .value_kind:     global_buffer
      - .offset:         80
        .size:           8
        .value_kind:     by_value
      - .offset:         88
        .size:           8
        .value_kind:     by_value
      - .offset:         96
        .size:           8
        .value_kind:     by_value
      - .address_space:  global
        .offset:         104
        .size:           8
        .value_kind:     global_buffer
      - .offset:         112
        .size:           8
        .value_kind:     by_value
      - .offset:         120
        .size:           8
        .value_kind:     by_value
      - .offset:         128
        .size:           4
        .value_kind:     by_value
      - .offset:         132
        .size:           4
        .value_kind:     by_value
      - .offset:         136
        .size:           1
        .value_kind:     by_value
    .group_segment_fixed_size: 576
    .kernarg_segment_align: 8
    .kernarg_segment_size: 140
    .language:       OpenCL C
    .language_version:
      - 2
      - 0
    .max_flat_workgroup_size: 64
    .name:           _ZN9rocsparseL31bsrmm_large_blockdim_kernel_extILj4ELj16ELj2EiiffffEEvb20rocsparse_direction_T3_S2_llNS_24const_host_device_scalarIT7_EEPKT2_PKS2_PKT4_S2_PKT5_llS5_PT6_ll16rocsparse_order_21rocsparse_index_base_b
    .private_segment_fixed_size: 0
    .sgpr_count:     32
    .sgpr_spill_count: 0
    .symbol:         _ZN9rocsparseL31bsrmm_large_blockdim_kernel_extILj4ELj16ELj2EiiffffEEvb20rocsparse_direction_T3_S2_llNS_24const_host_device_scalarIT7_EEPKT2_PKS2_PKT4_S2_PKT5_llS5_PT6_ll16rocsparse_order_21rocsparse_index_base_b.kd
    .uniform_work_group_size: 1
    .uses_dynamic_stack: false
    .vgpr_count:     26
    .vgpr_spill_count: 0
    .wavefront_size: 32
  - .args:
      - .offset:         0
        .size:           1
        .value_kind:     by_value
      - .offset:         4
        .size:           4
        .value_kind:     by_value
      - .offset:         8
        .size:           4
        .value_kind:     by_value
      - .offset:         12
        .size:           4
        .value_kind:     by_value
      - .offset:         16
        .size:           8
        .value_kind:     by_value
      - .offset:         24
        .size:           8
        .value_kind:     by_value
      - .offset:         32
        .size:           8
        .value_kind:     by_value
      - .actual_access:  read_only
        .address_space:  global
        .offset:         40
        .size:           8
        .value_kind:     global_buffer
      - .actual_access:  read_only
        .address_space:  global
        .offset:         48
        .size:           8
        .value_kind:     global_buffer
      - .actual_access:  read_only
        .address_space:  global
        .offset:         56
        .size:           8
        .value_kind:     global_buffer
      - .offset:         64
        .size:           4
        .value_kind:     by_value
      - .actual_access:  read_only
        .address_space:  global
        .offset:         72
        .size:           8
        .value_kind:     global_buffer
      - .offset:         80
        .size:           8
        .value_kind:     by_value
      - .offset:         88
        .size:           8
        .value_kind:     by_value
      - .offset:         96
        .size:           8
        .value_kind:     by_value
      - .address_space:  global
        .offset:         104
        .size:           8
        .value_kind:     global_buffer
      - .offset:         112
        .size:           8
        .value_kind:     by_value
      - .offset:         120
        .size:           8
        .value_kind:     by_value
      - .offset:         128
        .size:           4
        .value_kind:     by_value
      - .offset:         132
        .size:           4
        .value_kind:     by_value
      - .offset:         136
        .size:           1
        .value_kind:     by_value
    .group_segment_fixed_size: 3072
    .kernarg_segment_align: 8
    .kernarg_segment_size: 140
    .language:       OpenCL C
    .language_version:
      - 2
      - 0
    .max_flat_workgroup_size: 256
    .name:           _ZN9rocsparseL31bsrmm_large_blockdim_kernel_extILj16ELj16ELj2EiiffffEEvb20rocsparse_direction_T3_S2_llNS_24const_host_device_scalarIT7_EEPKT2_PKS2_PKT4_S2_PKT5_llS5_PT6_ll16rocsparse_order_21rocsparse_index_base_b
    .private_segment_fixed_size: 0
    .sgpr_count:     32
    .sgpr_spill_count: 0
    .symbol:         _ZN9rocsparseL31bsrmm_large_blockdim_kernel_extILj16ELj16ELj2EiiffffEEvb20rocsparse_direction_T3_S2_llNS_24const_host_device_scalarIT7_EEPKT2_PKS2_PKT4_S2_PKT5_llS5_PT6_ll16rocsparse_order_21rocsparse_index_base_b.kd
    .uniform_work_group_size: 1
    .uses_dynamic_stack: false
    .vgpr_count:     26
    .vgpr_spill_count: 0
    .wavefront_size: 32
  - .args:
      - .offset:         0
        .size:           1
        .value_kind:     by_value
      - .offset:         4
        .size:           4
        .value_kind:     by_value
      - .offset:         8
        .size:           4
        .value_kind:     by_value
      - .offset:         12
        .size:           4
        .value_kind:     by_value
      - .offset:         16
        .size:           8
        .value_kind:     by_value
      - .offset:         24
        .size:           8
        .value_kind:     by_value
      - .offset:         32
        .size:           8
        .value_kind:     by_value
      - .actual_access:  read_only
        .address_space:  global
        .offset:         40
        .size:           8
        .value_kind:     global_buffer
      - .actual_access:  read_only
        .address_space:  global
        .offset:         48
        .size:           8
        .value_kind:     global_buffer
      - .actual_access:  read_only
        .address_space:  global
        .offset:         56
        .size:           8
        .value_kind:     global_buffer
      - .offset:         64
        .size:           4
        .value_kind:     by_value
      - .actual_access:  read_only
        .address_space:  global
        .offset:         72
        .size:           8
        .value_kind:     global_buffer
      - .offset:         80
        .size:           8
        .value_kind:     by_value
      - .offset:         88
        .size:           8
        .value_kind:     by_value
      - .offset:         96
        .size:           8
        .value_kind:     by_value
      - .address_space:  global
        .offset:         104
        .size:           8
        .value_kind:     global_buffer
      - .offset:         112
        .size:           8
        .value_kind:     by_value
      - .offset:         120
        .size:           8
        .value_kind:     by_value
      - .offset:         128
        .size:           4
        .value_kind:     by_value
      - .offset:         132
        .size:           4
        .value_kind:     by_value
      - .offset:         136
        .size:           1
        .value_kind:     by_value
    .group_segment_fixed_size: 12288
    .kernarg_segment_align: 8
    .kernarg_segment_size: 140
    .language:       OpenCL C
    .language_version:
      - 2
      - 0
    .max_flat_workgroup_size: 1024
    .name:           _ZN9rocsparseL31bsrmm_large_blockdim_kernel_extILj32ELj32ELj2EiiffffEEvb20rocsparse_direction_T3_S2_llNS_24const_host_device_scalarIT7_EEPKT2_PKS2_PKT4_S2_PKT5_llS5_PT6_ll16rocsparse_order_21rocsparse_index_base_b
    .private_segment_fixed_size: 0
    .sgpr_count:     32
    .sgpr_spill_count: 0
    .symbol:         _ZN9rocsparseL31bsrmm_large_blockdim_kernel_extILj32ELj32ELj2EiiffffEEvb20rocsparse_direction_T3_S2_llNS_24const_host_device_scalarIT7_EEPKT2_PKS2_PKT4_S2_PKT5_llS5_PT6_ll16rocsparse_order_21rocsparse_index_base_b.kd
    .uniform_work_group_size: 1
    .uses_dynamic_stack: false
    .vgpr_count:     26
    .vgpr_spill_count: 0
    .wavefront_size: 32
  - .args:
      - .offset:         0
        .size:           1
        .value_kind:     by_value
      - .offset:         4
        .size:           4
        .value_kind:     by_value
      - .offset:         8
        .size:           4
        .value_kind:     by_value
      - .offset:         12
        .size:           4
        .value_kind:     by_value
      - .offset:         16
        .size:           8
        .value_kind:     by_value
      - .offset:         24
        .size:           8
        .value_kind:     by_value
      - .offset:         32
        .size:           8
        .value_kind:     by_value
      - .actual_access:  read_only
        .address_space:  global
        .offset:         40
        .size:           8
        .value_kind:     global_buffer
      - .actual_access:  read_only
        .address_space:  global
        .offset:         48
        .size:           8
        .value_kind:     global_buffer
      - .actual_access:  read_only
        .address_space:  global
        .offset:         56
        .size:           8
        .value_kind:     global_buffer
      - .offset:         64
        .size:           4
        .value_kind:     by_value
      - .actual_access:  read_only
        .address_space:  global
        .offset:         72
        .size:           8
        .value_kind:     global_buffer
      - .offset:         80
        .size:           8
        .value_kind:     by_value
      - .offset:         88
        .size:           8
        .value_kind:     by_value
      - .offset:         96
        .size:           8
        .value_kind:     by_value
      - .address_space:  global
        .offset:         104
        .size:           8
        .value_kind:     global_buffer
      - .offset:         112
        .size:           8
        .value_kind:     by_value
      - .offset:         120
        .size:           8
        .value_kind:     by_value
      - .offset:         128
        .size:           4
        .value_kind:     by_value
      - .offset:         132
        .size:           4
        .value_kind:     by_value
      - .offset:         136
        .size:           1
        .value_kind:     by_value
    .group_segment_fixed_size: 768
    .kernarg_segment_align: 8
    .kernarg_segment_size: 140
    .language:       OpenCL C
    .language_version:
      - 2
      - 0
    .max_flat_workgroup_size: 64
    .name:           _ZN9rocsparseL31bsrmm_large_blockdim_kernel_extILj8ELj8ELj2EliffffEEvb20rocsparse_direction_T3_S2_llNS_24const_host_device_scalarIT7_EEPKT2_PKS2_PKT4_S2_PKT5_llS5_PT6_ll16rocsparse_order_21rocsparse_index_base_b
    .private_segment_fixed_size: 0
    .sgpr_count:     38
    .sgpr_spill_count: 0
    .symbol:         _ZN9rocsparseL31bsrmm_large_blockdim_kernel_extILj8ELj8ELj2EliffffEEvb20rocsparse_direction_T3_S2_llNS_24const_host_device_scalarIT7_EEPKT2_PKS2_PKT4_S2_PKT5_llS5_PT6_ll16rocsparse_order_21rocsparse_index_base_b.kd
    .uniform_work_group_size: 1
    .uses_dynamic_stack: false
    .vgpr_count:     26
    .vgpr_spill_count: 0
    .wavefront_size: 32
  - .args:
      - .offset:         0
        .size:           1
        .value_kind:     by_value
      - .offset:         4
        .size:           4
        .value_kind:     by_value
      - .offset:         8
        .size:           4
        .value_kind:     by_value
      - .offset:         12
        .size:           4
        .value_kind:     by_value
      - .offset:         16
        .size:           8
        .value_kind:     by_value
      - .offset:         24
        .size:           8
        .value_kind:     by_value
      - .offset:         32
        .size:           8
        .value_kind:     by_value
      - .actual_access:  read_only
        .address_space:  global
        .offset:         40
        .size:           8
        .value_kind:     global_buffer
      - .actual_access:  read_only
        .address_space:  global
        .offset:         48
        .size:           8
        .value_kind:     global_buffer
      - .actual_access:  read_only
        .address_space:  global
        .offset:         56
        .size:           8
        .value_kind:     global_buffer
      - .offset:         64
        .size:           4
        .value_kind:     by_value
      - .actual_access:  read_only
        .address_space:  global
        .offset:         72
        .size:           8
        .value_kind:     global_buffer
      - .offset:         80
        .size:           8
        .value_kind:     by_value
      - .offset:         88
        .size:           8
        .value_kind:     by_value
      - .offset:         96
        .size:           8
        .value_kind:     by_value
      - .address_space:  global
        .offset:         104
        .size:           8
        .value_kind:     global_buffer
      - .offset:         112
        .size:           8
        .value_kind:     by_value
      - .offset:         120
        .size:           8
        .value_kind:     by_value
      - .offset:         128
        .size:           4
        .value_kind:     by_value
      - .offset:         132
        .size:           4
        .value_kind:     by_value
      - .offset:         136
        .size:           1
        .value_kind:     by_value
    .group_segment_fixed_size: 576
    .kernarg_segment_align: 8
    .kernarg_segment_size: 140
    .language:       OpenCL C
    .language_version:
      - 2
      - 0
    .max_flat_workgroup_size: 64
    .name:           _ZN9rocsparseL31bsrmm_large_blockdim_kernel_extILj4ELj16ELj2EliffffEEvb20rocsparse_direction_T3_S2_llNS_24const_host_device_scalarIT7_EEPKT2_PKS2_PKT4_S2_PKT5_llS5_PT6_ll16rocsparse_order_21rocsparse_index_base_b
    .private_segment_fixed_size: 0
    .sgpr_count:     38
    .sgpr_spill_count: 0
    .symbol:         _ZN9rocsparseL31bsrmm_large_blockdim_kernel_extILj4ELj16ELj2EliffffEEvb20rocsparse_direction_T3_S2_llNS_24const_host_device_scalarIT7_EEPKT2_PKS2_PKT4_S2_PKT5_llS5_PT6_ll16rocsparse_order_21rocsparse_index_base_b.kd
    .uniform_work_group_size: 1
    .uses_dynamic_stack: false
    .vgpr_count:     26
    .vgpr_spill_count: 0
    .wavefront_size: 32
  - .args:
      - .offset:         0
        .size:           1
        .value_kind:     by_value
      - .offset:         4
        .size:           4
        .value_kind:     by_value
      - .offset:         8
        .size:           4
        .value_kind:     by_value
      - .offset:         12
        .size:           4
        .value_kind:     by_value
      - .offset:         16
        .size:           8
        .value_kind:     by_value
      - .offset:         24
        .size:           8
        .value_kind:     by_value
      - .offset:         32
        .size:           8
        .value_kind:     by_value
      - .actual_access:  read_only
        .address_space:  global
        .offset:         40
        .size:           8
        .value_kind:     global_buffer
      - .actual_access:  read_only
        .address_space:  global
        .offset:         48
        .size:           8
        .value_kind:     global_buffer
      - .actual_access:  read_only
        .address_space:  global
        .offset:         56
        .size:           8
        .value_kind:     global_buffer
      - .offset:         64
        .size:           4
        .value_kind:     by_value
      - .actual_access:  read_only
        .address_space:  global
        .offset:         72
        .size:           8
        .value_kind:     global_buffer
      - .offset:         80
        .size:           8
        .value_kind:     by_value
      - .offset:         88
        .size:           8
        .value_kind:     by_value
      - .offset:         96
        .size:           8
        .value_kind:     by_value
      - .address_space:  global
        .offset:         104
        .size:           8
        .value_kind:     global_buffer
      - .offset:         112
        .size:           8
        .value_kind:     by_value
      - .offset:         120
        .size:           8
        .value_kind:     by_value
      - .offset:         128
        .size:           4
        .value_kind:     by_value
      - .offset:         132
        .size:           4
        .value_kind:     by_value
      - .offset:         136
        .size:           1
        .value_kind:     by_value
    .group_segment_fixed_size: 3072
    .kernarg_segment_align: 8
    .kernarg_segment_size: 140
    .language:       OpenCL C
    .language_version:
      - 2
      - 0
    .max_flat_workgroup_size: 256
    .name:           _ZN9rocsparseL31bsrmm_large_blockdim_kernel_extILj16ELj16ELj2EliffffEEvb20rocsparse_direction_T3_S2_llNS_24const_host_device_scalarIT7_EEPKT2_PKS2_PKT4_S2_PKT5_llS5_PT6_ll16rocsparse_order_21rocsparse_index_base_b
    .private_segment_fixed_size: 0
    .sgpr_count:     38
    .sgpr_spill_count: 0
    .symbol:         _ZN9rocsparseL31bsrmm_large_blockdim_kernel_extILj16ELj16ELj2EliffffEEvb20rocsparse_direction_T3_S2_llNS_24const_host_device_scalarIT7_EEPKT2_PKS2_PKT4_S2_PKT5_llS5_PT6_ll16rocsparse_order_21rocsparse_index_base_b.kd
    .uniform_work_group_size: 1
    .uses_dynamic_stack: false
    .vgpr_count:     26
    .vgpr_spill_count: 0
    .wavefront_size: 32
  - .args:
      - .offset:         0
        .size:           1
        .value_kind:     by_value
      - .offset:         4
        .size:           4
        .value_kind:     by_value
      - .offset:         8
        .size:           4
        .value_kind:     by_value
      - .offset:         12
        .size:           4
        .value_kind:     by_value
      - .offset:         16
        .size:           8
        .value_kind:     by_value
      - .offset:         24
        .size:           8
        .value_kind:     by_value
      - .offset:         32
        .size:           8
        .value_kind:     by_value
      - .actual_access:  read_only
        .address_space:  global
        .offset:         40
        .size:           8
        .value_kind:     global_buffer
      - .actual_access:  read_only
        .address_space:  global
        .offset:         48
        .size:           8
        .value_kind:     global_buffer
      - .actual_access:  read_only
        .address_space:  global
        .offset:         56
        .size:           8
        .value_kind:     global_buffer
      - .offset:         64
        .size:           4
        .value_kind:     by_value
      - .actual_access:  read_only
        .address_space:  global
        .offset:         72
        .size:           8
        .value_kind:     global_buffer
      - .offset:         80
        .size:           8
        .value_kind:     by_value
      - .offset:         88
        .size:           8
        .value_kind:     by_value
      - .offset:         96
        .size:           8
        .value_kind:     by_value
      - .address_space:  global
        .offset:         104
        .size:           8
        .value_kind:     global_buffer
      - .offset:         112
        .size:           8
        .value_kind:     by_value
      - .offset:         120
        .size:           8
        .value_kind:     by_value
      - .offset:         128
        .size:           4
        .value_kind:     by_value
      - .offset:         132
        .size:           4
        .value_kind:     by_value
      - .offset:         136
        .size:           1
        .value_kind:     by_value
    .group_segment_fixed_size: 12288
    .kernarg_segment_align: 8
    .kernarg_segment_size: 140
    .language:       OpenCL C
    .language_version:
      - 2
      - 0
    .max_flat_workgroup_size: 1024
    .name:           _ZN9rocsparseL31bsrmm_large_blockdim_kernel_extILj32ELj32ELj2EliffffEEvb20rocsparse_direction_T3_S2_llNS_24const_host_device_scalarIT7_EEPKT2_PKS2_PKT4_S2_PKT5_llS5_PT6_ll16rocsparse_order_21rocsparse_index_base_b
    .private_segment_fixed_size: 0
    .sgpr_count:     38
    .sgpr_spill_count: 0
    .symbol:         _ZN9rocsparseL31bsrmm_large_blockdim_kernel_extILj32ELj32ELj2EliffffEEvb20rocsparse_direction_T3_S2_llNS_24const_host_device_scalarIT7_EEPKT2_PKS2_PKT4_S2_PKT5_llS5_PT6_ll16rocsparse_order_21rocsparse_index_base_b.kd
    .uniform_work_group_size: 1
    .uses_dynamic_stack: false
    .vgpr_count:     26
    .vgpr_spill_count: 0
    .wavefront_size: 32
  - .args:
      - .offset:         0
        .size:           1
        .value_kind:     by_value
      - .offset:         4
        .size:           4
        .value_kind:     by_value
      - .offset:         8
        .size:           8
        .value_kind:     by_value
      - .offset:         16
        .size:           8
        .value_kind:     by_value
      - .offset:         24
        .size:           8
        .value_kind:     by_value
      - .offset:         32
        .size:           8
        .value_kind:     by_value
      - .offset:         40
        .size:           8
        .value_kind:     by_value
      - .actual_access:  read_only
        .address_space:  global
        .offset:         48
        .size:           8
        .value_kind:     global_buffer
      - .actual_access:  read_only
        .address_space:  global
        .offset:         56
        .size:           8
        .value_kind:     global_buffer
      - .actual_access:  read_only
        .address_space:  global
        .offset:         64
        .size:           8
        .value_kind:     global_buffer
      - .offset:         72
        .size:           8
        .value_kind:     by_value
      - .actual_access:  read_only
        .address_space:  global
        .offset:         80
        .size:           8
        .value_kind:     global_buffer
      - .offset:         88
        .size:           8
        .value_kind:     by_value
      - .offset:         96
        .size:           8
        .value_kind:     by_value
      - .offset:         104
        .size:           8
        .value_kind:     by_value
      - .address_space:  global
        .offset:         112
        .size:           8
        .value_kind:     global_buffer
      - .offset:         120
        .size:           8
        .value_kind:     by_value
      - .offset:         128
        .size:           8
        .value_kind:     by_value
      - .offset:         136
        .size:           4
        .value_kind:     by_value
      - .offset:         140
        .size:           4
        .value_kind:     by_value
      - .offset:         144
        .size:           1
        .value_kind:     by_value
    .group_segment_fixed_size: 768
    .kernarg_segment_align: 8
    .kernarg_segment_size: 148
    .language:       OpenCL C
    .language_version:
      - 2
      - 0
    .max_flat_workgroup_size: 64
    .name:           _ZN9rocsparseL31bsrmm_large_blockdim_kernel_extILj8ELj8ELj2EllffffEEvb20rocsparse_direction_T3_S2_llNS_24const_host_device_scalarIT7_EEPKT2_PKS2_PKT4_S2_PKT5_llS5_PT6_ll16rocsparse_order_21rocsparse_index_base_b
    .private_segment_fixed_size: 0
    .sgpr_count:     42
    .sgpr_spill_count: 0
    .symbol:         _ZN9rocsparseL31bsrmm_large_blockdim_kernel_extILj8ELj8ELj2EllffffEEvb20rocsparse_direction_T3_S2_llNS_24const_host_device_scalarIT7_EEPKT2_PKS2_PKT4_S2_PKT5_llS5_PT6_ll16rocsparse_order_21rocsparse_index_base_b.kd
    .uniform_work_group_size: 1
    .uses_dynamic_stack: false
    .vgpr_count:     30
    .vgpr_spill_count: 0
    .wavefront_size: 32
  - .args:
      - .offset:         0
        .size:           1
        .value_kind:     by_value
      - .offset:         4
        .size:           4
        .value_kind:     by_value
      - .offset:         8
        .size:           8
        .value_kind:     by_value
      - .offset:         16
        .size:           8
        .value_kind:     by_value
      - .offset:         24
        .size:           8
        .value_kind:     by_value
      - .offset:         32
        .size:           8
        .value_kind:     by_value
      - .offset:         40
        .size:           8
        .value_kind:     by_value
      - .actual_access:  read_only
        .address_space:  global
        .offset:         48
        .size:           8
        .value_kind:     global_buffer
      - .actual_access:  read_only
        .address_space:  global
        .offset:         56
        .size:           8
        .value_kind:     global_buffer
      - .actual_access:  read_only
        .address_space:  global
        .offset:         64
        .size:           8
        .value_kind:     global_buffer
      - .offset:         72
        .size:           8
        .value_kind:     by_value
      - .actual_access:  read_only
        .address_space:  global
        .offset:         80
        .size:           8
        .value_kind:     global_buffer
      - .offset:         88
        .size:           8
        .value_kind:     by_value
      - .offset:         96
        .size:           8
        .value_kind:     by_value
      - .offset:         104
        .size:           8
        .value_kind:     by_value
      - .address_space:  global
        .offset:         112
        .size:           8
        .value_kind:     global_buffer
      - .offset:         120
        .size:           8
        .value_kind:     by_value
      - .offset:         128
        .size:           8
        .value_kind:     by_value
      - .offset:         136
        .size:           4
        .value_kind:     by_value
      - .offset:         140
        .size:           4
        .value_kind:     by_value
      - .offset:         144
        .size:           1
        .value_kind:     by_value
    .group_segment_fixed_size: 576
    .kernarg_segment_align: 8
    .kernarg_segment_size: 148
    .language:       OpenCL C
    .language_version:
      - 2
      - 0
    .max_flat_workgroup_size: 64
    .name:           _ZN9rocsparseL31bsrmm_large_blockdim_kernel_extILj4ELj16ELj2EllffffEEvb20rocsparse_direction_T3_S2_llNS_24const_host_device_scalarIT7_EEPKT2_PKS2_PKT4_S2_PKT5_llS5_PT6_ll16rocsparse_order_21rocsparse_index_base_b
    .private_segment_fixed_size: 0
    .sgpr_count:     42
    .sgpr_spill_count: 0
    .symbol:         _ZN9rocsparseL31bsrmm_large_blockdim_kernel_extILj4ELj16ELj2EllffffEEvb20rocsparse_direction_T3_S2_llNS_24const_host_device_scalarIT7_EEPKT2_PKS2_PKT4_S2_PKT5_llS5_PT6_ll16rocsparse_order_21rocsparse_index_base_b.kd
    .uniform_work_group_size: 1
    .uses_dynamic_stack: false
    .vgpr_count:     30
    .vgpr_spill_count: 0
    .wavefront_size: 32
  - .args:
      - .offset:         0
        .size:           1
        .value_kind:     by_value
      - .offset:         4
        .size:           4
        .value_kind:     by_value
      - .offset:         8
        .size:           8
        .value_kind:     by_value
      - .offset:         16
        .size:           8
        .value_kind:     by_value
      - .offset:         24
        .size:           8
        .value_kind:     by_value
      - .offset:         32
        .size:           8
        .value_kind:     by_value
      - .offset:         40
        .size:           8
        .value_kind:     by_value
      - .actual_access:  read_only
        .address_space:  global
        .offset:         48
        .size:           8
        .value_kind:     global_buffer
      - .actual_access:  read_only
        .address_space:  global
        .offset:         56
        .size:           8
        .value_kind:     global_buffer
      - .actual_access:  read_only
        .address_space:  global
        .offset:         64
        .size:           8
        .value_kind:     global_buffer
      - .offset:         72
        .size:           8
        .value_kind:     by_value
      - .actual_access:  read_only
        .address_space:  global
        .offset:         80
        .size:           8
        .value_kind:     global_buffer
      - .offset:         88
        .size:           8
        .value_kind:     by_value
      - .offset:         96
        .size:           8
        .value_kind:     by_value
      - .offset:         104
        .size:           8
        .value_kind:     by_value
      - .address_space:  global
        .offset:         112
        .size:           8
        .value_kind:     global_buffer
      - .offset:         120
        .size:           8
        .value_kind:     by_value
      - .offset:         128
        .size:           8
        .value_kind:     by_value
      - .offset:         136
        .size:           4
        .value_kind:     by_value
      - .offset:         140
        .size:           4
        .value_kind:     by_value
      - .offset:         144
        .size:           1
        .value_kind:     by_value
    .group_segment_fixed_size: 3072
    .kernarg_segment_align: 8
    .kernarg_segment_size: 148
    .language:       OpenCL C
    .language_version:
      - 2
      - 0
    .max_flat_workgroup_size: 256
    .name:           _ZN9rocsparseL31bsrmm_large_blockdim_kernel_extILj16ELj16ELj2EllffffEEvb20rocsparse_direction_T3_S2_llNS_24const_host_device_scalarIT7_EEPKT2_PKS2_PKT4_S2_PKT5_llS5_PT6_ll16rocsparse_order_21rocsparse_index_base_b
    .private_segment_fixed_size: 0
    .sgpr_count:     42
    .sgpr_spill_count: 0
    .symbol:         _ZN9rocsparseL31bsrmm_large_blockdim_kernel_extILj16ELj16ELj2EllffffEEvb20rocsparse_direction_T3_S2_llNS_24const_host_device_scalarIT7_EEPKT2_PKS2_PKT4_S2_PKT5_llS5_PT6_ll16rocsparse_order_21rocsparse_index_base_b.kd
    .uniform_work_group_size: 1
    .uses_dynamic_stack: false
    .vgpr_count:     30
    .vgpr_spill_count: 0
    .wavefront_size: 32
  - .args:
      - .offset:         0
        .size:           1
        .value_kind:     by_value
      - .offset:         4
        .size:           4
        .value_kind:     by_value
      - .offset:         8
        .size:           8
        .value_kind:     by_value
      - .offset:         16
        .size:           8
        .value_kind:     by_value
      - .offset:         24
        .size:           8
        .value_kind:     by_value
      - .offset:         32
        .size:           8
        .value_kind:     by_value
      - .offset:         40
        .size:           8
        .value_kind:     by_value
      - .actual_access:  read_only
        .address_space:  global
        .offset:         48
        .size:           8
        .value_kind:     global_buffer
      - .actual_access:  read_only
        .address_space:  global
        .offset:         56
        .size:           8
        .value_kind:     global_buffer
      - .actual_access:  read_only
        .address_space:  global
        .offset:         64
        .size:           8
        .value_kind:     global_buffer
      - .offset:         72
        .size:           8
        .value_kind:     by_value
      - .actual_access:  read_only
        .address_space:  global
        .offset:         80
        .size:           8
        .value_kind:     global_buffer
      - .offset:         88
        .size:           8
        .value_kind:     by_value
      - .offset:         96
        .size:           8
        .value_kind:     by_value
      - .offset:         104
        .size:           8
        .value_kind:     by_value
      - .address_space:  global
        .offset:         112
        .size:           8
        .value_kind:     global_buffer
      - .offset:         120
        .size:           8
        .value_kind:     by_value
      - .offset:         128
        .size:           8
        .value_kind:     by_value
      - .offset:         136
        .size:           4
        .value_kind:     by_value
      - .offset:         140
        .size:           4
        .value_kind:     by_value
      - .offset:         144
        .size:           1
        .value_kind:     by_value
    .group_segment_fixed_size: 12288
    .kernarg_segment_align: 8
    .kernarg_segment_size: 148
    .language:       OpenCL C
    .language_version:
      - 2
      - 0
    .max_flat_workgroup_size: 1024
    .name:           _ZN9rocsparseL31bsrmm_large_blockdim_kernel_extILj32ELj32ELj2EllffffEEvb20rocsparse_direction_T3_S2_llNS_24const_host_device_scalarIT7_EEPKT2_PKS2_PKT4_S2_PKT5_llS5_PT6_ll16rocsparse_order_21rocsparse_index_base_b
    .private_segment_fixed_size: 0
    .sgpr_count:     42
    .sgpr_spill_count: 0
    .symbol:         _ZN9rocsparseL31bsrmm_large_blockdim_kernel_extILj32ELj32ELj2EllffffEEvb20rocsparse_direction_T3_S2_llNS_24const_host_device_scalarIT7_EEPKT2_PKS2_PKT4_S2_PKT5_llS5_PT6_ll16rocsparse_order_21rocsparse_index_base_b.kd
    .uniform_work_group_size: 1
    .uses_dynamic_stack: false
    .vgpr_count:     30
    .vgpr_spill_count: 0
    .wavefront_size: 32
  - .args:
      - .offset:         0
        .size:           1
        .value_kind:     by_value
      - .offset:         4
        .size:           4
        .value_kind:     by_value
      - .offset:         8
        .size:           4
        .value_kind:     by_value
      - .offset:         12
        .size:           4
        .value_kind:     by_value
      - .offset:         16
        .size:           8
        .value_kind:     by_value
      - .offset:         24
        .size:           8
        .value_kind:     by_value
      - .offset:         32
        .size:           8
        .value_kind:     by_value
      - .actual_access:  read_only
        .address_space:  global
        .offset:         40
        .size:           8
        .value_kind:     global_buffer
      - .actual_access:  read_only
        .address_space:  global
        .offset:         48
        .size:           8
        .value_kind:     global_buffer
      - .actual_access:  read_only
        .address_space:  global
        .offset:         56
        .size:           8
        .value_kind:     global_buffer
      - .offset:         64
        .size:           4
        .value_kind:     by_value
      - .actual_access:  read_only
        .address_space:  global
        .offset:         72
        .size:           8
        .value_kind:     global_buffer
      - .offset:         80
        .size:           8
        .value_kind:     by_value
      - .offset:         88
        .size:           8
        .value_kind:     by_value
      - .offset:         96
        .size:           8
        .value_kind:     by_value
      - .address_space:  global
        .offset:         104
        .size:           8
        .value_kind:     global_buffer
      - .offset:         112
        .size:           8
        .value_kind:     by_value
      - .offset:         120
        .size:           8
        .value_kind:     by_value
      - .offset:         128
        .size:           4
        .value_kind:     by_value
      - .offset:         132
        .size:           4
        .value_kind:     by_value
      - .offset:         136
        .size:           1
        .value_kind:     by_value
    .group_segment_fixed_size: 1536
    .kernarg_segment_align: 8
    .kernarg_segment_size: 140
    .language:       OpenCL C
    .language_version:
      - 2
      - 0
    .max_flat_workgroup_size: 64
    .name:           _ZN9rocsparseL31bsrmm_large_blockdim_kernel_extILj8ELj8ELj2EiiddddEEvb20rocsparse_direction_T3_S2_llNS_24const_host_device_scalarIT7_EEPKT2_PKS2_PKT4_S2_PKT5_llS5_PT6_ll16rocsparse_order_21rocsparse_index_base_b
    .private_segment_fixed_size: 0
    .sgpr_count:     30
    .sgpr_spill_count: 0
    .symbol:         _ZN9rocsparseL31bsrmm_large_blockdim_kernel_extILj8ELj8ELj2EiiddddEEvb20rocsparse_direction_T3_S2_llNS_24const_host_device_scalarIT7_EEPKT2_PKS2_PKT4_S2_PKT5_llS5_PT6_ll16rocsparse_order_21rocsparse_index_base_b.kd
    .uniform_work_group_size: 1
    .uses_dynamic_stack: false
    .vgpr_count:     32
    .vgpr_spill_count: 0
    .wavefront_size: 32
  - .args:
      - .offset:         0
        .size:           1
        .value_kind:     by_value
      - .offset:         4
        .size:           4
        .value_kind:     by_value
      - .offset:         8
        .size:           4
        .value_kind:     by_value
      - .offset:         12
        .size:           4
        .value_kind:     by_value
      - .offset:         16
        .size:           8
        .value_kind:     by_value
      - .offset:         24
        .size:           8
        .value_kind:     by_value
      - .offset:         32
        .size:           8
        .value_kind:     by_value
      - .actual_access:  read_only
        .address_space:  global
        .offset:         40
        .size:           8
        .value_kind:     global_buffer
      - .actual_access:  read_only
        .address_space:  global
        .offset:         48
        .size:           8
        .value_kind:     global_buffer
      - .actual_access:  read_only
        .address_space:  global
        .offset:         56
        .size:           8
        .value_kind:     global_buffer
      - .offset:         64
        .size:           4
        .value_kind:     by_value
      - .actual_access:  read_only
        .address_space:  global
        .offset:         72
        .size:           8
        .value_kind:     global_buffer
      - .offset:         80
        .size:           8
        .value_kind:     by_value
      - .offset:         88
        .size:           8
        .value_kind:     by_value
      - .offset:         96
        .size:           8
        .value_kind:     by_value
      - .address_space:  global
        .offset:         104
        .size:           8
        .value_kind:     global_buffer
      - .offset:         112
        .size:           8
        .value_kind:     by_value
      - .offset:         120
        .size:           8
        .value_kind:     by_value
      - .offset:         128
        .size:           4
        .value_kind:     by_value
      - .offset:         132
        .size:           4
        .value_kind:     by_value
      - .offset:         136
        .size:           1
        .value_kind:     by_value
    .group_segment_fixed_size: 1152
    .kernarg_segment_align: 8
    .kernarg_segment_size: 140
    .language:       OpenCL C
    .language_version:
      - 2
      - 0
    .max_flat_workgroup_size: 64
    .name:           _ZN9rocsparseL31bsrmm_large_blockdim_kernel_extILj4ELj16ELj2EiiddddEEvb20rocsparse_direction_T3_S2_llNS_24const_host_device_scalarIT7_EEPKT2_PKS2_PKT4_S2_PKT5_llS5_PT6_ll16rocsparse_order_21rocsparse_index_base_b
    .private_segment_fixed_size: 0
    .sgpr_count:     30
    .sgpr_spill_count: 0
    .symbol:         _ZN9rocsparseL31bsrmm_large_blockdim_kernel_extILj4ELj16ELj2EiiddddEEvb20rocsparse_direction_T3_S2_llNS_24const_host_device_scalarIT7_EEPKT2_PKS2_PKT4_S2_PKT5_llS5_PT6_ll16rocsparse_order_21rocsparse_index_base_b.kd
    .uniform_work_group_size: 1
    .uses_dynamic_stack: false
    .vgpr_count:     32
    .vgpr_spill_count: 0
    .wavefront_size: 32
  - .args:
      - .offset:         0
        .size:           1
        .value_kind:     by_value
      - .offset:         4
        .size:           4
        .value_kind:     by_value
      - .offset:         8
        .size:           4
        .value_kind:     by_value
      - .offset:         12
        .size:           4
        .value_kind:     by_value
      - .offset:         16
        .size:           8
        .value_kind:     by_value
      - .offset:         24
        .size:           8
        .value_kind:     by_value
      - .offset:         32
        .size:           8
        .value_kind:     by_value
      - .actual_access:  read_only
        .address_space:  global
        .offset:         40
        .size:           8
        .value_kind:     global_buffer
      - .actual_access:  read_only
        .address_space:  global
        .offset:         48
        .size:           8
        .value_kind:     global_buffer
      - .actual_access:  read_only
        .address_space:  global
        .offset:         56
        .size:           8
        .value_kind:     global_buffer
      - .offset:         64
        .size:           4
        .value_kind:     by_value
      - .actual_access:  read_only
        .address_space:  global
        .offset:         72
        .size:           8
        .value_kind:     global_buffer
      - .offset:         80
        .size:           8
        .value_kind:     by_value
      - .offset:         88
        .size:           8
        .value_kind:     by_value
      - .offset:         96
        .size:           8
        .value_kind:     by_value
      - .address_space:  global
        .offset:         104
        .size:           8
        .value_kind:     global_buffer
      - .offset:         112
        .size:           8
        .value_kind:     by_value
      - .offset:         120
        .size:           8
        .value_kind:     by_value
      - .offset:         128
        .size:           4
        .value_kind:     by_value
      - .offset:         132
        .size:           4
        .value_kind:     by_value
      - .offset:         136
        .size:           1
        .value_kind:     by_value
    .group_segment_fixed_size: 6144
    .kernarg_segment_align: 8
    .kernarg_segment_size: 140
    .language:       OpenCL C
    .language_version:
      - 2
      - 0
    .max_flat_workgroup_size: 256
    .name:           _ZN9rocsparseL31bsrmm_large_blockdim_kernel_extILj16ELj16ELj2EiiddddEEvb20rocsparse_direction_T3_S2_llNS_24const_host_device_scalarIT7_EEPKT2_PKS2_PKT4_S2_PKT5_llS5_PT6_ll16rocsparse_order_21rocsparse_index_base_b
    .private_segment_fixed_size: 0
    .sgpr_count:     30
    .sgpr_spill_count: 0
    .symbol:         _ZN9rocsparseL31bsrmm_large_blockdim_kernel_extILj16ELj16ELj2EiiddddEEvb20rocsparse_direction_T3_S2_llNS_24const_host_device_scalarIT7_EEPKT2_PKS2_PKT4_S2_PKT5_llS5_PT6_ll16rocsparse_order_21rocsparse_index_base_b.kd
    .uniform_work_group_size: 1
    .uses_dynamic_stack: false
    .vgpr_count:     32
    .vgpr_spill_count: 0
    .wavefront_size: 32
  - .args:
      - .offset:         0
        .size:           1
        .value_kind:     by_value
      - .offset:         4
        .size:           4
        .value_kind:     by_value
      - .offset:         8
        .size:           4
        .value_kind:     by_value
      - .offset:         12
        .size:           4
        .value_kind:     by_value
      - .offset:         16
        .size:           8
        .value_kind:     by_value
      - .offset:         24
        .size:           8
        .value_kind:     by_value
      - .offset:         32
        .size:           8
        .value_kind:     by_value
      - .actual_access:  read_only
        .address_space:  global
        .offset:         40
        .size:           8
        .value_kind:     global_buffer
      - .actual_access:  read_only
        .address_space:  global
        .offset:         48
        .size:           8
        .value_kind:     global_buffer
      - .actual_access:  read_only
        .address_space:  global
        .offset:         56
        .size:           8
        .value_kind:     global_buffer
      - .offset:         64
        .size:           4
        .value_kind:     by_value
      - .actual_access:  read_only
        .address_space:  global
        .offset:         72
        .size:           8
        .value_kind:     global_buffer
      - .offset:         80
        .size:           8
        .value_kind:     by_value
      - .offset:         88
        .size:           8
        .value_kind:     by_value
      - .offset:         96
        .size:           8
        .value_kind:     by_value
      - .address_space:  global
        .offset:         104
        .size:           8
        .value_kind:     global_buffer
      - .offset:         112
        .size:           8
        .value_kind:     by_value
      - .offset:         120
        .size:           8
        .value_kind:     by_value
      - .offset:         128
        .size:           4
        .value_kind:     by_value
      - .offset:         132
        .size:           4
        .value_kind:     by_value
      - .offset:         136
        .size:           1
        .value_kind:     by_value
    .group_segment_fixed_size: 24576
    .kernarg_segment_align: 8
    .kernarg_segment_size: 140
    .language:       OpenCL C
    .language_version:
      - 2
      - 0
    .max_flat_workgroup_size: 1024
    .name:           _ZN9rocsparseL31bsrmm_large_blockdim_kernel_extILj32ELj32ELj2EiiddddEEvb20rocsparse_direction_T3_S2_llNS_24const_host_device_scalarIT7_EEPKT2_PKS2_PKT4_S2_PKT5_llS5_PT6_ll16rocsparse_order_21rocsparse_index_base_b
    .private_segment_fixed_size: 0
    .sgpr_count:     30
    .sgpr_spill_count: 0
    .symbol:         _ZN9rocsparseL31bsrmm_large_blockdim_kernel_extILj32ELj32ELj2EiiddddEEvb20rocsparse_direction_T3_S2_llNS_24const_host_device_scalarIT7_EEPKT2_PKS2_PKT4_S2_PKT5_llS5_PT6_ll16rocsparse_order_21rocsparse_index_base_b.kd
    .uniform_work_group_size: 1
    .uses_dynamic_stack: false
    .vgpr_count:     32
    .vgpr_spill_count: 0
    .wavefront_size: 32
  - .args:
      - .offset:         0
        .size:           1
        .value_kind:     by_value
      - .offset:         4
        .size:           4
        .value_kind:     by_value
      - .offset:         8
        .size:           4
        .value_kind:     by_value
      - .offset:         12
        .size:           4
        .value_kind:     by_value
      - .offset:         16
        .size:           8
        .value_kind:     by_value
      - .offset:         24
        .size:           8
        .value_kind:     by_value
      - .offset:         32
        .size:           8
        .value_kind:     by_value
      - .actual_access:  read_only
        .address_space:  global
        .offset:         40
        .size:           8
        .value_kind:     global_buffer
      - .actual_access:  read_only
        .address_space:  global
        .offset:         48
        .size:           8
        .value_kind:     global_buffer
      - .actual_access:  read_only
        .address_space:  global
        .offset:         56
        .size:           8
        .value_kind:     global_buffer
      - .offset:         64
        .size:           4
        .value_kind:     by_value
      - .actual_access:  read_only
        .address_space:  global
        .offset:         72
        .size:           8
        .value_kind:     global_buffer
      - .offset:         80
        .size:           8
        .value_kind:     by_value
      - .offset:         88
        .size:           8
        .value_kind:     by_value
      - .offset:         96
        .size:           8
        .value_kind:     by_value
      - .address_space:  global
        .offset:         104
        .size:           8
        .value_kind:     global_buffer
      - .offset:         112
        .size:           8
        .value_kind:     by_value
      - .offset:         120
        .size:           8
        .value_kind:     by_value
      - .offset:         128
        .size:           4
        .value_kind:     by_value
      - .offset:         132
        .size:           4
        .value_kind:     by_value
      - .offset:         136
        .size:           1
        .value_kind:     by_value
    .group_segment_fixed_size: 1536
    .kernarg_segment_align: 8
    .kernarg_segment_size: 140
    .language:       OpenCL C
    .language_version:
      - 2
      - 0
    .max_flat_workgroup_size: 64
    .name:           _ZN9rocsparseL31bsrmm_large_blockdim_kernel_extILj8ELj8ELj2EliddddEEvb20rocsparse_direction_T3_S2_llNS_24const_host_device_scalarIT7_EEPKT2_PKS2_PKT4_S2_PKT5_llS5_PT6_ll16rocsparse_order_21rocsparse_index_base_b
    .private_segment_fixed_size: 0
    .sgpr_count:     31
    .sgpr_spill_count: 0
    .symbol:         _ZN9rocsparseL31bsrmm_large_blockdim_kernel_extILj8ELj8ELj2EliddddEEvb20rocsparse_direction_T3_S2_llNS_24const_host_device_scalarIT7_EEPKT2_PKS2_PKT4_S2_PKT5_llS5_PT6_ll16rocsparse_order_21rocsparse_index_base_b.kd
    .uniform_work_group_size: 1
    .uses_dynamic_stack: false
    .vgpr_count:     32
    .vgpr_spill_count: 0
    .wavefront_size: 32
  - .args:
      - .offset:         0
        .size:           1
        .value_kind:     by_value
      - .offset:         4
        .size:           4
        .value_kind:     by_value
      - .offset:         8
        .size:           4
        .value_kind:     by_value
      - .offset:         12
        .size:           4
        .value_kind:     by_value
      - .offset:         16
        .size:           8
        .value_kind:     by_value
      - .offset:         24
        .size:           8
        .value_kind:     by_value
      - .offset:         32
        .size:           8
        .value_kind:     by_value
      - .actual_access:  read_only
        .address_space:  global
        .offset:         40
        .size:           8
        .value_kind:     global_buffer
      - .actual_access:  read_only
        .address_space:  global
        .offset:         48
        .size:           8
        .value_kind:     global_buffer
      - .actual_access:  read_only
        .address_space:  global
        .offset:         56
        .size:           8
        .value_kind:     global_buffer
      - .offset:         64
        .size:           4
        .value_kind:     by_value
      - .actual_access:  read_only
        .address_space:  global
        .offset:         72
        .size:           8
        .value_kind:     global_buffer
      - .offset:         80
        .size:           8
        .value_kind:     by_value
      - .offset:         88
        .size:           8
        .value_kind:     by_value
      - .offset:         96
        .size:           8
        .value_kind:     by_value
      - .address_space:  global
        .offset:         104
        .size:           8
        .value_kind:     global_buffer
      - .offset:         112
        .size:           8
        .value_kind:     by_value
      - .offset:         120
        .size:           8
        .value_kind:     by_value
      - .offset:         128
        .size:           4
        .value_kind:     by_value
      - .offset:         132
        .size:           4
        .value_kind:     by_value
      - .offset:         136
        .size:           1
        .value_kind:     by_value
    .group_segment_fixed_size: 1152
    .kernarg_segment_align: 8
    .kernarg_segment_size: 140
    .language:       OpenCL C
    .language_version:
      - 2
      - 0
    .max_flat_workgroup_size: 64
    .name:           _ZN9rocsparseL31bsrmm_large_blockdim_kernel_extILj4ELj16ELj2EliddddEEvb20rocsparse_direction_T3_S2_llNS_24const_host_device_scalarIT7_EEPKT2_PKS2_PKT4_S2_PKT5_llS5_PT6_ll16rocsparse_order_21rocsparse_index_base_b
    .private_segment_fixed_size: 0
    .sgpr_count:     31
    .sgpr_spill_count: 0
    .symbol:         _ZN9rocsparseL31bsrmm_large_blockdim_kernel_extILj4ELj16ELj2EliddddEEvb20rocsparse_direction_T3_S2_llNS_24const_host_device_scalarIT7_EEPKT2_PKS2_PKT4_S2_PKT5_llS5_PT6_ll16rocsparse_order_21rocsparse_index_base_b.kd
    .uniform_work_group_size: 1
    .uses_dynamic_stack: false
    .vgpr_count:     32
    .vgpr_spill_count: 0
    .wavefront_size: 32
  - .args:
      - .offset:         0
        .size:           1
        .value_kind:     by_value
      - .offset:         4
        .size:           4
        .value_kind:     by_value
      - .offset:         8
        .size:           4
        .value_kind:     by_value
      - .offset:         12
        .size:           4
        .value_kind:     by_value
      - .offset:         16
        .size:           8
        .value_kind:     by_value
      - .offset:         24
        .size:           8
        .value_kind:     by_value
      - .offset:         32
        .size:           8
        .value_kind:     by_value
      - .actual_access:  read_only
        .address_space:  global
        .offset:         40
        .size:           8
        .value_kind:     global_buffer
      - .actual_access:  read_only
        .address_space:  global
        .offset:         48
        .size:           8
        .value_kind:     global_buffer
      - .actual_access:  read_only
        .address_space:  global
        .offset:         56
        .size:           8
        .value_kind:     global_buffer
      - .offset:         64
        .size:           4
        .value_kind:     by_value
      - .actual_access:  read_only
        .address_space:  global
        .offset:         72
        .size:           8
        .value_kind:     global_buffer
      - .offset:         80
        .size:           8
        .value_kind:     by_value
      - .offset:         88
        .size:           8
        .value_kind:     by_value
      - .offset:         96
        .size:           8
        .value_kind:     by_value
      - .address_space:  global
        .offset:         104
        .size:           8
        .value_kind:     global_buffer
      - .offset:         112
        .size:           8
        .value_kind:     by_value
      - .offset:         120
        .size:           8
        .value_kind:     by_value
      - .offset:         128
        .size:           4
        .value_kind:     by_value
      - .offset:         132
        .size:           4
        .value_kind:     by_value
      - .offset:         136
        .size:           1
        .value_kind:     by_value
    .group_segment_fixed_size: 6144
    .kernarg_segment_align: 8
    .kernarg_segment_size: 140
    .language:       OpenCL C
    .language_version:
      - 2
      - 0
    .max_flat_workgroup_size: 256
    .name:           _ZN9rocsparseL31bsrmm_large_blockdim_kernel_extILj16ELj16ELj2EliddddEEvb20rocsparse_direction_T3_S2_llNS_24const_host_device_scalarIT7_EEPKT2_PKS2_PKT4_S2_PKT5_llS5_PT6_ll16rocsparse_order_21rocsparse_index_base_b
    .private_segment_fixed_size: 0
    .sgpr_count:     31
    .sgpr_spill_count: 0
    .symbol:         _ZN9rocsparseL31bsrmm_large_blockdim_kernel_extILj16ELj16ELj2EliddddEEvb20rocsparse_direction_T3_S2_llNS_24const_host_device_scalarIT7_EEPKT2_PKS2_PKT4_S2_PKT5_llS5_PT6_ll16rocsparse_order_21rocsparse_index_base_b.kd
    .uniform_work_group_size: 1
    .uses_dynamic_stack: false
    .vgpr_count:     32
    .vgpr_spill_count: 0
    .wavefront_size: 32
  - .args:
      - .offset:         0
        .size:           1
        .value_kind:     by_value
      - .offset:         4
        .size:           4
        .value_kind:     by_value
      - .offset:         8
        .size:           4
        .value_kind:     by_value
      - .offset:         12
        .size:           4
        .value_kind:     by_value
      - .offset:         16
        .size:           8
        .value_kind:     by_value
      - .offset:         24
        .size:           8
        .value_kind:     by_value
      - .offset:         32
        .size:           8
        .value_kind:     by_value
      - .actual_access:  read_only
        .address_space:  global
        .offset:         40
        .size:           8
        .value_kind:     global_buffer
      - .actual_access:  read_only
        .address_space:  global
        .offset:         48
        .size:           8
        .value_kind:     global_buffer
      - .actual_access:  read_only
        .address_space:  global
        .offset:         56
        .size:           8
        .value_kind:     global_buffer
      - .offset:         64
        .size:           4
        .value_kind:     by_value
      - .actual_access:  read_only
        .address_space:  global
        .offset:         72
        .size:           8
        .value_kind:     global_buffer
      - .offset:         80
        .size:           8
        .value_kind:     by_value
      - .offset:         88
        .size:           8
        .value_kind:     by_value
      - .offset:         96
        .size:           8
        .value_kind:     by_value
      - .address_space:  global
        .offset:         104
        .size:           8
        .value_kind:     global_buffer
      - .offset:         112
        .size:           8
        .value_kind:     by_value
      - .offset:         120
        .size:           8
        .value_kind:     by_value
      - .offset:         128
        .size:           4
        .value_kind:     by_value
      - .offset:         132
        .size:           4
        .value_kind:     by_value
      - .offset:         136
        .size:           1
        .value_kind:     by_value
    .group_segment_fixed_size: 24576
    .kernarg_segment_align: 8
    .kernarg_segment_size: 140
    .language:       OpenCL C
    .language_version:
      - 2
      - 0
    .max_flat_workgroup_size: 1024
    .name:           _ZN9rocsparseL31bsrmm_large_blockdim_kernel_extILj32ELj32ELj2EliddddEEvb20rocsparse_direction_T3_S2_llNS_24const_host_device_scalarIT7_EEPKT2_PKS2_PKT4_S2_PKT5_llS5_PT6_ll16rocsparse_order_21rocsparse_index_base_b
    .private_segment_fixed_size: 0
    .sgpr_count:     31
    .sgpr_spill_count: 0
    .symbol:         _ZN9rocsparseL31bsrmm_large_blockdim_kernel_extILj32ELj32ELj2EliddddEEvb20rocsparse_direction_T3_S2_llNS_24const_host_device_scalarIT7_EEPKT2_PKS2_PKT4_S2_PKT5_llS5_PT6_ll16rocsparse_order_21rocsparse_index_base_b.kd
    .uniform_work_group_size: 1
    .uses_dynamic_stack: false
    .vgpr_count:     32
    .vgpr_spill_count: 0
    .wavefront_size: 32
  - .args:
      - .offset:         0
        .size:           1
        .value_kind:     by_value
      - .offset:         4
        .size:           4
        .value_kind:     by_value
      - .offset:         8
        .size:           8
        .value_kind:     by_value
      - .offset:         16
        .size:           8
        .value_kind:     by_value
      - .offset:         24
        .size:           8
        .value_kind:     by_value
      - .offset:         32
        .size:           8
        .value_kind:     by_value
      - .offset:         40
        .size:           8
        .value_kind:     by_value
      - .actual_access:  read_only
        .address_space:  global
        .offset:         48
        .size:           8
        .value_kind:     global_buffer
      - .actual_access:  read_only
        .address_space:  global
        .offset:         56
        .size:           8
        .value_kind:     global_buffer
      - .actual_access:  read_only
        .address_space:  global
        .offset:         64
        .size:           8
        .value_kind:     global_buffer
      - .offset:         72
        .size:           8
        .value_kind:     by_value
      - .actual_access:  read_only
        .address_space:  global
        .offset:         80
        .size:           8
        .value_kind:     global_buffer
      - .offset:         88
        .size:           8
        .value_kind:     by_value
      - .offset:         96
        .size:           8
        .value_kind:     by_value
      - .offset:         104
        .size:           8
        .value_kind:     by_value
      - .address_space:  global
        .offset:         112
        .size:           8
        .value_kind:     global_buffer
      - .offset:         120
        .size:           8
        .value_kind:     by_value
      - .offset:         128
        .size:           8
        .value_kind:     by_value
      - .offset:         136
        .size:           4
        .value_kind:     by_value
      - .offset:         140
        .size:           4
        .value_kind:     by_value
      - .offset:         144
        .size:           1
        .value_kind:     by_value
    .group_segment_fixed_size: 1536
    .kernarg_segment_align: 8
    .kernarg_segment_size: 148
    .language:       OpenCL C
    .language_version:
      - 2
      - 0
    .max_flat_workgroup_size: 64
    .name:           _ZN9rocsparseL31bsrmm_large_blockdim_kernel_extILj8ELj8ELj2EllddddEEvb20rocsparse_direction_T3_S2_llNS_24const_host_device_scalarIT7_EEPKT2_PKS2_PKT4_S2_PKT5_llS5_PT6_ll16rocsparse_order_21rocsparse_index_base_b
    .private_segment_fixed_size: 0
    .sgpr_count:     40
    .sgpr_spill_count: 0
    .symbol:         _ZN9rocsparseL31bsrmm_large_blockdim_kernel_extILj8ELj8ELj2EllddddEEvb20rocsparse_direction_T3_S2_llNS_24const_host_device_scalarIT7_EEPKT2_PKS2_PKT4_S2_PKT5_llS5_PT6_ll16rocsparse_order_21rocsparse_index_base_b.kd
    .uniform_work_group_size: 1
    .uses_dynamic_stack: false
    .vgpr_count:     36
    .vgpr_spill_count: 0
    .wavefront_size: 32
  - .args:
      - .offset:         0
        .size:           1
        .value_kind:     by_value
      - .offset:         4
        .size:           4
        .value_kind:     by_value
      - .offset:         8
        .size:           8
        .value_kind:     by_value
      - .offset:         16
        .size:           8
        .value_kind:     by_value
      - .offset:         24
        .size:           8
        .value_kind:     by_value
      - .offset:         32
        .size:           8
        .value_kind:     by_value
      - .offset:         40
        .size:           8
        .value_kind:     by_value
      - .actual_access:  read_only
        .address_space:  global
        .offset:         48
        .size:           8
        .value_kind:     global_buffer
      - .actual_access:  read_only
        .address_space:  global
        .offset:         56
        .size:           8
        .value_kind:     global_buffer
      - .actual_access:  read_only
        .address_space:  global
        .offset:         64
        .size:           8
        .value_kind:     global_buffer
      - .offset:         72
        .size:           8
        .value_kind:     by_value
      - .actual_access:  read_only
        .address_space:  global
        .offset:         80
        .size:           8
        .value_kind:     global_buffer
      - .offset:         88
        .size:           8
        .value_kind:     by_value
      - .offset:         96
        .size:           8
        .value_kind:     by_value
      - .offset:         104
        .size:           8
        .value_kind:     by_value
      - .address_space:  global
        .offset:         112
        .size:           8
        .value_kind:     global_buffer
      - .offset:         120
        .size:           8
        .value_kind:     by_value
      - .offset:         128
        .size:           8
        .value_kind:     by_value
      - .offset:         136
        .size:           4
        .value_kind:     by_value
      - .offset:         140
        .size:           4
        .value_kind:     by_value
      - .offset:         144
        .size:           1
        .value_kind:     by_value
    .group_segment_fixed_size: 1152
    .kernarg_segment_align: 8
    .kernarg_segment_size: 148
    .language:       OpenCL C
    .language_version:
      - 2
      - 0
    .max_flat_workgroup_size: 64
    .name:           _ZN9rocsparseL31bsrmm_large_blockdim_kernel_extILj4ELj16ELj2EllddddEEvb20rocsparse_direction_T3_S2_llNS_24const_host_device_scalarIT7_EEPKT2_PKS2_PKT4_S2_PKT5_llS5_PT6_ll16rocsparse_order_21rocsparse_index_base_b
    .private_segment_fixed_size: 0
    .sgpr_count:     40
    .sgpr_spill_count: 0
    .symbol:         _ZN9rocsparseL31bsrmm_large_blockdim_kernel_extILj4ELj16ELj2EllddddEEvb20rocsparse_direction_T3_S2_llNS_24const_host_device_scalarIT7_EEPKT2_PKS2_PKT4_S2_PKT5_llS5_PT6_ll16rocsparse_order_21rocsparse_index_base_b.kd
    .uniform_work_group_size: 1
    .uses_dynamic_stack: false
    .vgpr_count:     36
    .vgpr_spill_count: 0
    .wavefront_size: 32
  - .args:
      - .offset:         0
        .size:           1
        .value_kind:     by_value
      - .offset:         4
        .size:           4
        .value_kind:     by_value
      - .offset:         8
        .size:           8
        .value_kind:     by_value
      - .offset:         16
        .size:           8
        .value_kind:     by_value
      - .offset:         24
        .size:           8
        .value_kind:     by_value
      - .offset:         32
        .size:           8
        .value_kind:     by_value
      - .offset:         40
        .size:           8
        .value_kind:     by_value
      - .actual_access:  read_only
        .address_space:  global
        .offset:         48
        .size:           8
        .value_kind:     global_buffer
      - .actual_access:  read_only
        .address_space:  global
        .offset:         56
        .size:           8
        .value_kind:     global_buffer
      - .actual_access:  read_only
        .address_space:  global
        .offset:         64
        .size:           8
        .value_kind:     global_buffer
      - .offset:         72
        .size:           8
        .value_kind:     by_value
      - .actual_access:  read_only
        .address_space:  global
        .offset:         80
        .size:           8
        .value_kind:     global_buffer
      - .offset:         88
        .size:           8
        .value_kind:     by_value
      - .offset:         96
        .size:           8
        .value_kind:     by_value
      - .offset:         104
        .size:           8
        .value_kind:     by_value
      - .address_space:  global
        .offset:         112
        .size:           8
        .value_kind:     global_buffer
      - .offset:         120
        .size:           8
        .value_kind:     by_value
      - .offset:         128
        .size:           8
        .value_kind:     by_value
      - .offset:         136
        .size:           4
        .value_kind:     by_value
      - .offset:         140
        .size:           4
        .value_kind:     by_value
      - .offset:         144
        .size:           1
        .value_kind:     by_value
    .group_segment_fixed_size: 6144
    .kernarg_segment_align: 8
    .kernarg_segment_size: 148
    .language:       OpenCL C
    .language_version:
      - 2
      - 0
    .max_flat_workgroup_size: 256
    .name:           _ZN9rocsparseL31bsrmm_large_blockdim_kernel_extILj16ELj16ELj2EllddddEEvb20rocsparse_direction_T3_S2_llNS_24const_host_device_scalarIT7_EEPKT2_PKS2_PKT4_S2_PKT5_llS5_PT6_ll16rocsparse_order_21rocsparse_index_base_b
    .private_segment_fixed_size: 0
    .sgpr_count:     40
    .sgpr_spill_count: 0
    .symbol:         _ZN9rocsparseL31bsrmm_large_blockdim_kernel_extILj16ELj16ELj2EllddddEEvb20rocsparse_direction_T3_S2_llNS_24const_host_device_scalarIT7_EEPKT2_PKS2_PKT4_S2_PKT5_llS5_PT6_ll16rocsparse_order_21rocsparse_index_base_b.kd
    .uniform_work_group_size: 1
    .uses_dynamic_stack: false
    .vgpr_count:     36
    .vgpr_spill_count: 0
    .wavefront_size: 32
  - .args:
      - .offset:         0
        .size:           1
        .value_kind:     by_value
      - .offset:         4
        .size:           4
        .value_kind:     by_value
      - .offset:         8
        .size:           8
        .value_kind:     by_value
      - .offset:         16
        .size:           8
        .value_kind:     by_value
      - .offset:         24
        .size:           8
        .value_kind:     by_value
      - .offset:         32
        .size:           8
        .value_kind:     by_value
      - .offset:         40
        .size:           8
        .value_kind:     by_value
      - .actual_access:  read_only
        .address_space:  global
        .offset:         48
        .size:           8
        .value_kind:     global_buffer
      - .actual_access:  read_only
        .address_space:  global
        .offset:         56
        .size:           8
        .value_kind:     global_buffer
      - .actual_access:  read_only
        .address_space:  global
        .offset:         64
        .size:           8
        .value_kind:     global_buffer
      - .offset:         72
        .size:           8
        .value_kind:     by_value
      - .actual_access:  read_only
        .address_space:  global
        .offset:         80
        .size:           8
        .value_kind:     global_buffer
      - .offset:         88
        .size:           8
        .value_kind:     by_value
      - .offset:         96
        .size:           8
        .value_kind:     by_value
      - .offset:         104
        .size:           8
        .value_kind:     by_value
      - .address_space:  global
        .offset:         112
        .size:           8
        .value_kind:     global_buffer
      - .offset:         120
        .size:           8
        .value_kind:     by_value
      - .offset:         128
        .size:           8
        .value_kind:     by_value
      - .offset:         136
        .size:           4
        .value_kind:     by_value
      - .offset:         140
        .size:           4
        .value_kind:     by_value
      - .offset:         144
        .size:           1
        .value_kind:     by_value
    .group_segment_fixed_size: 24576
    .kernarg_segment_align: 8
    .kernarg_segment_size: 148
    .language:       OpenCL C
    .language_version:
      - 2
      - 0
    .max_flat_workgroup_size: 1024
    .name:           _ZN9rocsparseL31bsrmm_large_blockdim_kernel_extILj32ELj32ELj2EllddddEEvb20rocsparse_direction_T3_S2_llNS_24const_host_device_scalarIT7_EEPKT2_PKS2_PKT4_S2_PKT5_llS5_PT6_ll16rocsparse_order_21rocsparse_index_base_b
    .private_segment_fixed_size: 0
    .sgpr_count:     40
    .sgpr_spill_count: 0
    .symbol:         _ZN9rocsparseL31bsrmm_large_blockdim_kernel_extILj32ELj32ELj2EllddddEEvb20rocsparse_direction_T3_S2_llNS_24const_host_device_scalarIT7_EEPKT2_PKS2_PKT4_S2_PKT5_llS5_PT6_ll16rocsparse_order_21rocsparse_index_base_b.kd
    .uniform_work_group_size: 1
    .uses_dynamic_stack: false
    .vgpr_count:     36
    .vgpr_spill_count: 0
    .wavefront_size: 32
  - .args:
      - .offset:         0
        .size:           1
        .value_kind:     by_value
      - .offset:         4
        .size:           4
        .value_kind:     by_value
      - .offset:         8
        .size:           4
        .value_kind:     by_value
      - .offset:         12
        .size:           4
        .value_kind:     by_value
      - .offset:         16
        .size:           8
        .value_kind:     by_value
      - .offset:         24
        .size:           8
        .value_kind:     by_value
      - .offset:         32
        .size:           8
        .value_kind:     by_value
      - .actual_access:  read_only
        .address_space:  global
        .offset:         40
        .size:           8
        .value_kind:     global_buffer
      - .actual_access:  read_only
        .address_space:  global
        .offset:         48
        .size:           8
        .value_kind:     global_buffer
      - .actual_access:  read_only
        .address_space:  global
        .offset:         56
        .size:           8
        .value_kind:     global_buffer
      - .offset:         64
        .size:           4
        .value_kind:     by_value
      - .actual_access:  read_only
        .address_space:  global
        .offset:         72
        .size:           8
        .value_kind:     global_buffer
      - .offset:         80
        .size:           8
        .value_kind:     by_value
      - .offset:         88
        .size:           8
        .value_kind:     by_value
      - .offset:         96
        .size:           8
        .value_kind:     by_value
      - .address_space:  global
        .offset:         104
        .size:           8
        .value_kind:     global_buffer
      - .offset:         112
        .size:           8
        .value_kind:     by_value
      - .offset:         120
        .size:           8
        .value_kind:     by_value
      - .offset:         128
        .size:           4
        .value_kind:     by_value
      - .offset:         132
        .size:           4
        .value_kind:     by_value
      - .offset:         136
        .size:           1
        .value_kind:     by_value
    .group_segment_fixed_size: 1536
    .kernarg_segment_align: 8
    .kernarg_segment_size: 140
    .language:       OpenCL C
    .language_version:
      - 2
      - 0
    .max_flat_workgroup_size: 64
    .name:           _ZN9rocsparseL31bsrmm_large_blockdim_kernel_extILj8ELj8ELj2Eii21rocsparse_complex_numIfES2_S2_S2_EEvb20rocsparse_direction_T3_S4_llNS_24const_host_device_scalarIT7_EEPKT2_PKS4_PKT4_S4_PKT5_llS7_PT6_ll16rocsparse_order_21rocsparse_index_base_b
    .private_segment_fixed_size: 0
    .sgpr_count:     32
    .sgpr_spill_count: 0
    .symbol:         _ZN9rocsparseL31bsrmm_large_blockdim_kernel_extILj8ELj8ELj2Eii21rocsparse_complex_numIfES2_S2_S2_EEvb20rocsparse_direction_T3_S4_llNS_24const_host_device_scalarIT7_EEPKT2_PKS4_PKT4_S4_PKT5_llS7_PT6_ll16rocsparse_order_21rocsparse_index_base_b.kd
    .uniform_work_group_size: 1
    .uses_dynamic_stack: false
    .vgpr_count:     32
    .vgpr_spill_count: 0
    .wavefront_size: 32
  - .args:
      - .offset:         0
        .size:           1
        .value_kind:     by_value
      - .offset:         4
        .size:           4
        .value_kind:     by_value
      - .offset:         8
        .size:           4
        .value_kind:     by_value
      - .offset:         12
        .size:           4
        .value_kind:     by_value
      - .offset:         16
        .size:           8
        .value_kind:     by_value
      - .offset:         24
        .size:           8
        .value_kind:     by_value
      - .offset:         32
        .size:           8
        .value_kind:     by_value
      - .actual_access:  read_only
        .address_space:  global
        .offset:         40
        .size:           8
        .value_kind:     global_buffer
      - .actual_access:  read_only
        .address_space:  global
        .offset:         48
        .size:           8
        .value_kind:     global_buffer
      - .actual_access:  read_only
        .address_space:  global
        .offset:         56
        .size:           8
        .value_kind:     global_buffer
      - .offset:         64
        .size:           4
        .value_kind:     by_value
      - .actual_access:  read_only
        .address_space:  global
        .offset:         72
        .size:           8
        .value_kind:     global_buffer
      - .offset:         80
        .size:           8
        .value_kind:     by_value
      - .offset:         88
        .size:           8
        .value_kind:     by_value
      - .offset:         96
        .size:           8
        .value_kind:     by_value
      - .address_space:  global
        .offset:         104
        .size:           8
        .value_kind:     global_buffer
      - .offset:         112
        .size:           8
        .value_kind:     by_value
      - .offset:         120
        .size:           8
        .value_kind:     by_value
      - .offset:         128
        .size:           4
        .value_kind:     by_value
      - .offset:         132
        .size:           4
        .value_kind:     by_value
      - .offset:         136
        .size:           1
        .value_kind:     by_value
    .group_segment_fixed_size: 1152
    .kernarg_segment_align: 8
    .kernarg_segment_size: 140
    .language:       OpenCL C
    .language_version:
      - 2
      - 0
    .max_flat_workgroup_size: 64
    .name:           _ZN9rocsparseL31bsrmm_large_blockdim_kernel_extILj4ELj16ELj2Eii21rocsparse_complex_numIfES2_S2_S2_EEvb20rocsparse_direction_T3_S4_llNS_24const_host_device_scalarIT7_EEPKT2_PKS4_PKT4_S4_PKT5_llS7_PT6_ll16rocsparse_order_21rocsparse_index_base_b
    .private_segment_fixed_size: 0
    .sgpr_count:     32
    .sgpr_spill_count: 0
    .symbol:         _ZN9rocsparseL31bsrmm_large_blockdim_kernel_extILj4ELj16ELj2Eii21rocsparse_complex_numIfES2_S2_S2_EEvb20rocsparse_direction_T3_S4_llNS_24const_host_device_scalarIT7_EEPKT2_PKS4_PKT4_S4_PKT5_llS7_PT6_ll16rocsparse_order_21rocsparse_index_base_b.kd
    .uniform_work_group_size: 1
    .uses_dynamic_stack: false
    .vgpr_count:     32
    .vgpr_spill_count: 0
    .wavefront_size: 32
  - .args:
      - .offset:         0
        .size:           1
        .value_kind:     by_value
      - .offset:         4
        .size:           4
        .value_kind:     by_value
      - .offset:         8
        .size:           4
        .value_kind:     by_value
      - .offset:         12
        .size:           4
        .value_kind:     by_value
      - .offset:         16
        .size:           8
        .value_kind:     by_value
      - .offset:         24
        .size:           8
        .value_kind:     by_value
      - .offset:         32
        .size:           8
        .value_kind:     by_value
      - .actual_access:  read_only
        .address_space:  global
        .offset:         40
        .size:           8
        .value_kind:     global_buffer
      - .actual_access:  read_only
        .address_space:  global
        .offset:         48
        .size:           8
        .value_kind:     global_buffer
      - .actual_access:  read_only
        .address_space:  global
        .offset:         56
        .size:           8
        .value_kind:     global_buffer
      - .offset:         64
        .size:           4
        .value_kind:     by_value
      - .actual_access:  read_only
        .address_space:  global
        .offset:         72
        .size:           8
        .value_kind:     global_buffer
      - .offset:         80
        .size:           8
        .value_kind:     by_value
      - .offset:         88
        .size:           8
        .value_kind:     by_value
      - .offset:         96
        .size:           8
        .value_kind:     by_value
      - .address_space:  global
        .offset:         104
        .size:           8
        .value_kind:     global_buffer
      - .offset:         112
        .size:           8
        .value_kind:     by_value
      - .offset:         120
        .size:           8
        .value_kind:     by_value
      - .offset:         128
        .size:           4
        .value_kind:     by_value
      - .offset:         132
        .size:           4
        .value_kind:     by_value
      - .offset:         136
        .size:           1
        .value_kind:     by_value
    .group_segment_fixed_size: 6144
    .kernarg_segment_align: 8
    .kernarg_segment_size: 140
    .language:       OpenCL C
    .language_version:
      - 2
      - 0
    .max_flat_workgroup_size: 256
    .name:           _ZN9rocsparseL31bsrmm_large_blockdim_kernel_extILj16ELj16ELj2Eii21rocsparse_complex_numIfES2_S2_S2_EEvb20rocsparse_direction_T3_S4_llNS_24const_host_device_scalarIT7_EEPKT2_PKS4_PKT4_S4_PKT5_llS7_PT6_ll16rocsparse_order_21rocsparse_index_base_b
    .private_segment_fixed_size: 0
    .sgpr_count:     32
    .sgpr_spill_count: 0
    .symbol:         _ZN9rocsparseL31bsrmm_large_blockdim_kernel_extILj16ELj16ELj2Eii21rocsparse_complex_numIfES2_S2_S2_EEvb20rocsparse_direction_T3_S4_llNS_24const_host_device_scalarIT7_EEPKT2_PKS4_PKT4_S4_PKT5_llS7_PT6_ll16rocsparse_order_21rocsparse_index_base_b.kd
    .uniform_work_group_size: 1
    .uses_dynamic_stack: false
    .vgpr_count:     32
    .vgpr_spill_count: 0
    .wavefront_size: 32
  - .args:
      - .offset:         0
        .size:           1
        .value_kind:     by_value
      - .offset:         4
        .size:           4
        .value_kind:     by_value
      - .offset:         8
        .size:           4
        .value_kind:     by_value
      - .offset:         12
        .size:           4
        .value_kind:     by_value
      - .offset:         16
        .size:           8
        .value_kind:     by_value
      - .offset:         24
        .size:           8
        .value_kind:     by_value
      - .offset:         32
        .size:           8
        .value_kind:     by_value
      - .actual_access:  read_only
        .address_space:  global
        .offset:         40
        .size:           8
        .value_kind:     global_buffer
      - .actual_access:  read_only
        .address_space:  global
        .offset:         48
        .size:           8
        .value_kind:     global_buffer
      - .actual_access:  read_only
        .address_space:  global
        .offset:         56
        .size:           8
        .value_kind:     global_buffer
      - .offset:         64
        .size:           4
        .value_kind:     by_value
      - .actual_access:  read_only
        .address_space:  global
        .offset:         72
        .size:           8
        .value_kind:     global_buffer
      - .offset:         80
        .size:           8
        .value_kind:     by_value
      - .offset:         88
        .size:           8
        .value_kind:     by_value
      - .offset:         96
        .size:           8
        .value_kind:     by_value
      - .address_space:  global
        .offset:         104
        .size:           8
        .value_kind:     global_buffer
      - .offset:         112
        .size:           8
        .value_kind:     by_value
      - .offset:         120
        .size:           8
        .value_kind:     by_value
      - .offset:         128
        .size:           4
        .value_kind:     by_value
      - .offset:         132
        .size:           4
        .value_kind:     by_value
      - .offset:         136
        .size:           1
        .value_kind:     by_value
    .group_segment_fixed_size: 24576
    .kernarg_segment_align: 8
    .kernarg_segment_size: 140
    .language:       OpenCL C
    .language_version:
      - 2
      - 0
    .max_flat_workgroup_size: 1024
    .name:           _ZN9rocsparseL31bsrmm_large_blockdim_kernel_extILj32ELj32ELj2Eii21rocsparse_complex_numIfES2_S2_S2_EEvb20rocsparse_direction_T3_S4_llNS_24const_host_device_scalarIT7_EEPKT2_PKS4_PKT4_S4_PKT5_llS7_PT6_ll16rocsparse_order_21rocsparse_index_base_b
    .private_segment_fixed_size: 0
    .sgpr_count:     32
    .sgpr_spill_count: 0
    .symbol:         _ZN9rocsparseL31bsrmm_large_blockdim_kernel_extILj32ELj32ELj2Eii21rocsparse_complex_numIfES2_S2_S2_EEvb20rocsparse_direction_T3_S4_llNS_24const_host_device_scalarIT7_EEPKT2_PKS4_PKT4_S4_PKT5_llS7_PT6_ll16rocsparse_order_21rocsparse_index_base_b.kd
    .uniform_work_group_size: 1
    .uses_dynamic_stack: false
    .vgpr_count:     32
    .vgpr_spill_count: 0
    .wavefront_size: 32
  - .args:
      - .offset:         0
        .size:           1
        .value_kind:     by_value
      - .offset:         4
        .size:           4
        .value_kind:     by_value
      - .offset:         8
        .size:           4
        .value_kind:     by_value
      - .offset:         12
        .size:           4
        .value_kind:     by_value
      - .offset:         16
        .size:           8
        .value_kind:     by_value
      - .offset:         24
        .size:           8
        .value_kind:     by_value
      - .offset:         32
        .size:           8
        .value_kind:     by_value
      - .actual_access:  read_only
        .address_space:  global
        .offset:         40
        .size:           8
        .value_kind:     global_buffer
      - .actual_access:  read_only
        .address_space:  global
        .offset:         48
        .size:           8
        .value_kind:     global_buffer
      - .actual_access:  read_only
        .address_space:  global
        .offset:         56
        .size:           8
        .value_kind:     global_buffer
      - .offset:         64
        .size:           4
        .value_kind:     by_value
      - .actual_access:  read_only
        .address_space:  global
        .offset:         72
        .size:           8
        .value_kind:     global_buffer
      - .offset:         80
        .size:           8
        .value_kind:     by_value
      - .offset:         88
        .size:           8
        .value_kind:     by_value
      - .offset:         96
        .size:           8
        .value_kind:     by_value
      - .address_space:  global
        .offset:         104
        .size:           8
        .value_kind:     global_buffer
      - .offset:         112
        .size:           8
        .value_kind:     by_value
      - .offset:         120
        .size:           8
        .value_kind:     by_value
      - .offset:         128
        .size:           4
        .value_kind:     by_value
      - .offset:         132
        .size:           4
        .value_kind:     by_value
      - .offset:         136
        .size:           1
        .value_kind:     by_value
    .group_segment_fixed_size: 1536
    .kernarg_segment_align: 8
    .kernarg_segment_size: 140
    .language:       OpenCL C
    .language_version:
      - 2
      - 0
    .max_flat_workgroup_size: 64
    .name:           _ZN9rocsparseL31bsrmm_large_blockdim_kernel_extILj8ELj8ELj2Eli21rocsparse_complex_numIfES2_S2_S2_EEvb20rocsparse_direction_T3_S4_llNS_24const_host_device_scalarIT7_EEPKT2_PKS4_PKT4_S4_PKT5_llS7_PT6_ll16rocsparse_order_21rocsparse_index_base_b
    .private_segment_fixed_size: 0
    .sgpr_count:     34
    .sgpr_spill_count: 0
    .symbol:         _ZN9rocsparseL31bsrmm_large_blockdim_kernel_extILj8ELj8ELj2Eli21rocsparse_complex_numIfES2_S2_S2_EEvb20rocsparse_direction_T3_S4_llNS_24const_host_device_scalarIT7_EEPKT2_PKS4_PKT4_S4_PKT5_llS7_PT6_ll16rocsparse_order_21rocsparse_index_base_b.kd
    .uniform_work_group_size: 1
    .uses_dynamic_stack: false
    .vgpr_count:     32
    .vgpr_spill_count: 0
    .wavefront_size: 32
  - .args:
      - .offset:         0
        .size:           1
        .value_kind:     by_value
      - .offset:         4
        .size:           4
        .value_kind:     by_value
      - .offset:         8
        .size:           4
        .value_kind:     by_value
      - .offset:         12
        .size:           4
        .value_kind:     by_value
      - .offset:         16
        .size:           8
        .value_kind:     by_value
      - .offset:         24
        .size:           8
        .value_kind:     by_value
      - .offset:         32
        .size:           8
        .value_kind:     by_value
      - .actual_access:  read_only
        .address_space:  global
        .offset:         40
        .size:           8
        .value_kind:     global_buffer
      - .actual_access:  read_only
        .address_space:  global
        .offset:         48
        .size:           8
        .value_kind:     global_buffer
      - .actual_access:  read_only
        .address_space:  global
        .offset:         56
        .size:           8
        .value_kind:     global_buffer
      - .offset:         64
        .size:           4
        .value_kind:     by_value
      - .actual_access:  read_only
        .address_space:  global
        .offset:         72
        .size:           8
        .value_kind:     global_buffer
      - .offset:         80
        .size:           8
        .value_kind:     by_value
      - .offset:         88
        .size:           8
        .value_kind:     by_value
      - .offset:         96
        .size:           8
        .value_kind:     by_value
      - .address_space:  global
        .offset:         104
        .size:           8
        .value_kind:     global_buffer
      - .offset:         112
        .size:           8
        .value_kind:     by_value
      - .offset:         120
        .size:           8
        .value_kind:     by_value
      - .offset:         128
        .size:           4
        .value_kind:     by_value
      - .offset:         132
        .size:           4
        .value_kind:     by_value
      - .offset:         136
        .size:           1
        .value_kind:     by_value
    .group_segment_fixed_size: 1152
    .kernarg_segment_align: 8
    .kernarg_segment_size: 140
    .language:       OpenCL C
    .language_version:
      - 2
      - 0
    .max_flat_workgroup_size: 64
    .name:           _ZN9rocsparseL31bsrmm_large_blockdim_kernel_extILj4ELj16ELj2Eli21rocsparse_complex_numIfES2_S2_S2_EEvb20rocsparse_direction_T3_S4_llNS_24const_host_device_scalarIT7_EEPKT2_PKS4_PKT4_S4_PKT5_llS7_PT6_ll16rocsparse_order_21rocsparse_index_base_b
    .private_segment_fixed_size: 0
    .sgpr_count:     34
    .sgpr_spill_count: 0
    .symbol:         _ZN9rocsparseL31bsrmm_large_blockdim_kernel_extILj4ELj16ELj2Eli21rocsparse_complex_numIfES2_S2_S2_EEvb20rocsparse_direction_T3_S4_llNS_24const_host_device_scalarIT7_EEPKT2_PKS4_PKT4_S4_PKT5_llS7_PT6_ll16rocsparse_order_21rocsparse_index_base_b.kd
    .uniform_work_group_size: 1
    .uses_dynamic_stack: false
    .vgpr_count:     32
    .vgpr_spill_count: 0
    .wavefront_size: 32
  - .args:
      - .offset:         0
        .size:           1
        .value_kind:     by_value
      - .offset:         4
        .size:           4
        .value_kind:     by_value
      - .offset:         8
        .size:           4
        .value_kind:     by_value
      - .offset:         12
        .size:           4
        .value_kind:     by_value
      - .offset:         16
        .size:           8
        .value_kind:     by_value
      - .offset:         24
        .size:           8
        .value_kind:     by_value
      - .offset:         32
        .size:           8
        .value_kind:     by_value
      - .actual_access:  read_only
        .address_space:  global
        .offset:         40
        .size:           8
        .value_kind:     global_buffer
      - .actual_access:  read_only
        .address_space:  global
        .offset:         48
        .size:           8
        .value_kind:     global_buffer
      - .actual_access:  read_only
        .address_space:  global
        .offset:         56
        .size:           8
        .value_kind:     global_buffer
      - .offset:         64
        .size:           4
        .value_kind:     by_value
      - .actual_access:  read_only
        .address_space:  global
        .offset:         72
        .size:           8
        .value_kind:     global_buffer
      - .offset:         80
        .size:           8
        .value_kind:     by_value
      - .offset:         88
        .size:           8
        .value_kind:     by_value
      - .offset:         96
        .size:           8
        .value_kind:     by_value
      - .address_space:  global
        .offset:         104
        .size:           8
        .value_kind:     global_buffer
      - .offset:         112
        .size:           8
        .value_kind:     by_value
      - .offset:         120
        .size:           8
        .value_kind:     by_value
      - .offset:         128
        .size:           4
        .value_kind:     by_value
      - .offset:         132
        .size:           4
        .value_kind:     by_value
      - .offset:         136
        .size:           1
        .value_kind:     by_value
    .group_segment_fixed_size: 6144
    .kernarg_segment_align: 8
    .kernarg_segment_size: 140
    .language:       OpenCL C
    .language_version:
      - 2
      - 0
    .max_flat_workgroup_size: 256
    .name:           _ZN9rocsparseL31bsrmm_large_blockdim_kernel_extILj16ELj16ELj2Eli21rocsparse_complex_numIfES2_S2_S2_EEvb20rocsparse_direction_T3_S4_llNS_24const_host_device_scalarIT7_EEPKT2_PKS4_PKT4_S4_PKT5_llS7_PT6_ll16rocsparse_order_21rocsparse_index_base_b
    .private_segment_fixed_size: 0
    .sgpr_count:     34
    .sgpr_spill_count: 0
    .symbol:         _ZN9rocsparseL31bsrmm_large_blockdim_kernel_extILj16ELj16ELj2Eli21rocsparse_complex_numIfES2_S2_S2_EEvb20rocsparse_direction_T3_S4_llNS_24const_host_device_scalarIT7_EEPKT2_PKS4_PKT4_S4_PKT5_llS7_PT6_ll16rocsparse_order_21rocsparse_index_base_b.kd
    .uniform_work_group_size: 1
    .uses_dynamic_stack: false
    .vgpr_count:     32
    .vgpr_spill_count: 0
    .wavefront_size: 32
  - .args:
      - .offset:         0
        .size:           1
        .value_kind:     by_value
      - .offset:         4
        .size:           4
        .value_kind:     by_value
      - .offset:         8
        .size:           4
        .value_kind:     by_value
      - .offset:         12
        .size:           4
        .value_kind:     by_value
      - .offset:         16
        .size:           8
        .value_kind:     by_value
      - .offset:         24
        .size:           8
        .value_kind:     by_value
      - .offset:         32
        .size:           8
        .value_kind:     by_value
      - .actual_access:  read_only
        .address_space:  global
        .offset:         40
        .size:           8
        .value_kind:     global_buffer
      - .actual_access:  read_only
        .address_space:  global
        .offset:         48
        .size:           8
        .value_kind:     global_buffer
      - .actual_access:  read_only
        .address_space:  global
        .offset:         56
        .size:           8
        .value_kind:     global_buffer
      - .offset:         64
        .size:           4
        .value_kind:     by_value
      - .actual_access:  read_only
        .address_space:  global
        .offset:         72
        .size:           8
        .value_kind:     global_buffer
      - .offset:         80
        .size:           8
        .value_kind:     by_value
      - .offset:         88
        .size:           8
        .value_kind:     by_value
      - .offset:         96
        .size:           8
        .value_kind:     by_value
      - .address_space:  global
        .offset:         104
        .size:           8
        .value_kind:     global_buffer
      - .offset:         112
        .size:           8
        .value_kind:     by_value
      - .offset:         120
        .size:           8
        .value_kind:     by_value
      - .offset:         128
        .size:           4
        .value_kind:     by_value
      - .offset:         132
        .size:           4
        .value_kind:     by_value
      - .offset:         136
        .size:           1
        .value_kind:     by_value
    .group_segment_fixed_size: 24576
    .kernarg_segment_align: 8
    .kernarg_segment_size: 140
    .language:       OpenCL C
    .language_version:
      - 2
      - 0
    .max_flat_workgroup_size: 1024
    .name:           _ZN9rocsparseL31bsrmm_large_blockdim_kernel_extILj32ELj32ELj2Eli21rocsparse_complex_numIfES2_S2_S2_EEvb20rocsparse_direction_T3_S4_llNS_24const_host_device_scalarIT7_EEPKT2_PKS4_PKT4_S4_PKT5_llS7_PT6_ll16rocsparse_order_21rocsparse_index_base_b
    .private_segment_fixed_size: 0
    .sgpr_count:     34
    .sgpr_spill_count: 0
    .symbol:         _ZN9rocsparseL31bsrmm_large_blockdim_kernel_extILj32ELj32ELj2Eli21rocsparse_complex_numIfES2_S2_S2_EEvb20rocsparse_direction_T3_S4_llNS_24const_host_device_scalarIT7_EEPKT2_PKS4_PKT4_S4_PKT5_llS7_PT6_ll16rocsparse_order_21rocsparse_index_base_b.kd
    .uniform_work_group_size: 1
    .uses_dynamic_stack: false
    .vgpr_count:     32
    .vgpr_spill_count: 0
    .wavefront_size: 32
  - .args:
      - .offset:         0
        .size:           1
        .value_kind:     by_value
      - .offset:         4
        .size:           4
        .value_kind:     by_value
      - .offset:         8
        .size:           8
        .value_kind:     by_value
      - .offset:         16
        .size:           8
        .value_kind:     by_value
      - .offset:         24
        .size:           8
        .value_kind:     by_value
      - .offset:         32
        .size:           8
        .value_kind:     by_value
      - .offset:         40
        .size:           8
        .value_kind:     by_value
      - .actual_access:  read_only
        .address_space:  global
        .offset:         48
        .size:           8
        .value_kind:     global_buffer
      - .actual_access:  read_only
        .address_space:  global
        .offset:         56
        .size:           8
        .value_kind:     global_buffer
      - .actual_access:  read_only
        .address_space:  global
        .offset:         64
        .size:           8
        .value_kind:     global_buffer
      - .offset:         72
        .size:           8
        .value_kind:     by_value
      - .actual_access:  read_only
        .address_space:  global
        .offset:         80
        .size:           8
        .value_kind:     global_buffer
      - .offset:         88
        .size:           8
        .value_kind:     by_value
      - .offset:         96
        .size:           8
        .value_kind:     by_value
      - .offset:         104
        .size:           8
        .value_kind:     by_value
      - .address_space:  global
        .offset:         112
        .size:           8
        .value_kind:     global_buffer
      - .offset:         120
        .size:           8
        .value_kind:     by_value
      - .offset:         128
        .size:           8
        .value_kind:     by_value
      - .offset:         136
        .size:           4
        .value_kind:     by_value
      - .offset:         140
        .size:           4
        .value_kind:     by_value
      - .offset:         144
        .size:           1
        .value_kind:     by_value
    .group_segment_fixed_size: 1536
    .kernarg_segment_align: 8
    .kernarg_segment_size: 148
    .language:       OpenCL C
    .language_version:
      - 2
      - 0
    .max_flat_workgroup_size: 64
    .name:           _ZN9rocsparseL31bsrmm_large_blockdim_kernel_extILj8ELj8ELj2Ell21rocsparse_complex_numIfES2_S2_S2_EEvb20rocsparse_direction_T3_S4_llNS_24const_host_device_scalarIT7_EEPKT2_PKS4_PKT4_S4_PKT5_llS7_PT6_ll16rocsparse_order_21rocsparse_index_base_b
    .private_segment_fixed_size: 0
    .sgpr_count:     40
    .sgpr_spill_count: 0
    .symbol:         _ZN9rocsparseL31bsrmm_large_blockdim_kernel_extILj8ELj8ELj2Ell21rocsparse_complex_numIfES2_S2_S2_EEvb20rocsparse_direction_T3_S4_llNS_24const_host_device_scalarIT7_EEPKT2_PKS4_PKT4_S4_PKT5_llS7_PT6_ll16rocsparse_order_21rocsparse_index_base_b.kd
    .uniform_work_group_size: 1
    .uses_dynamic_stack: false
    .vgpr_count:     36
    .vgpr_spill_count: 0
    .wavefront_size: 32
  - .args:
      - .offset:         0
        .size:           1
        .value_kind:     by_value
      - .offset:         4
        .size:           4
        .value_kind:     by_value
      - .offset:         8
        .size:           8
        .value_kind:     by_value
      - .offset:         16
        .size:           8
        .value_kind:     by_value
      - .offset:         24
        .size:           8
        .value_kind:     by_value
      - .offset:         32
        .size:           8
        .value_kind:     by_value
      - .offset:         40
        .size:           8
        .value_kind:     by_value
      - .actual_access:  read_only
        .address_space:  global
        .offset:         48
        .size:           8
        .value_kind:     global_buffer
      - .actual_access:  read_only
        .address_space:  global
        .offset:         56
        .size:           8
        .value_kind:     global_buffer
      - .actual_access:  read_only
        .address_space:  global
        .offset:         64
        .size:           8
        .value_kind:     global_buffer
      - .offset:         72
        .size:           8
        .value_kind:     by_value
      - .actual_access:  read_only
        .address_space:  global
        .offset:         80
        .size:           8
        .value_kind:     global_buffer
      - .offset:         88
        .size:           8
        .value_kind:     by_value
      - .offset:         96
        .size:           8
        .value_kind:     by_value
      - .offset:         104
        .size:           8
        .value_kind:     by_value
      - .address_space:  global
        .offset:         112
        .size:           8
        .value_kind:     global_buffer
      - .offset:         120
        .size:           8
        .value_kind:     by_value
      - .offset:         128
        .size:           8
        .value_kind:     by_value
      - .offset:         136
        .size:           4
        .value_kind:     by_value
      - .offset:         140
        .size:           4
        .value_kind:     by_value
      - .offset:         144
        .size:           1
        .value_kind:     by_value
    .group_segment_fixed_size: 1152
    .kernarg_segment_align: 8
    .kernarg_segment_size: 148
    .language:       OpenCL C
    .language_version:
      - 2
      - 0
    .max_flat_workgroup_size: 64
    .name:           _ZN9rocsparseL31bsrmm_large_blockdim_kernel_extILj4ELj16ELj2Ell21rocsparse_complex_numIfES2_S2_S2_EEvb20rocsparse_direction_T3_S4_llNS_24const_host_device_scalarIT7_EEPKT2_PKS4_PKT4_S4_PKT5_llS7_PT6_ll16rocsparse_order_21rocsparse_index_base_b
    .private_segment_fixed_size: 0
    .sgpr_count:     40
    .sgpr_spill_count: 0
    .symbol:         _ZN9rocsparseL31bsrmm_large_blockdim_kernel_extILj4ELj16ELj2Ell21rocsparse_complex_numIfES2_S2_S2_EEvb20rocsparse_direction_T3_S4_llNS_24const_host_device_scalarIT7_EEPKT2_PKS4_PKT4_S4_PKT5_llS7_PT6_ll16rocsparse_order_21rocsparse_index_base_b.kd
    .uniform_work_group_size: 1
    .uses_dynamic_stack: false
    .vgpr_count:     36
    .vgpr_spill_count: 0
    .wavefront_size: 32
  - .args:
      - .offset:         0
        .size:           1
        .value_kind:     by_value
      - .offset:         4
        .size:           4
        .value_kind:     by_value
      - .offset:         8
        .size:           8
        .value_kind:     by_value
      - .offset:         16
        .size:           8
        .value_kind:     by_value
      - .offset:         24
        .size:           8
        .value_kind:     by_value
      - .offset:         32
        .size:           8
        .value_kind:     by_value
      - .offset:         40
        .size:           8
        .value_kind:     by_value
      - .actual_access:  read_only
        .address_space:  global
        .offset:         48
        .size:           8
        .value_kind:     global_buffer
      - .actual_access:  read_only
        .address_space:  global
        .offset:         56
        .size:           8
        .value_kind:     global_buffer
      - .actual_access:  read_only
        .address_space:  global
        .offset:         64
        .size:           8
        .value_kind:     global_buffer
      - .offset:         72
        .size:           8
        .value_kind:     by_value
      - .actual_access:  read_only
        .address_space:  global
        .offset:         80
        .size:           8
        .value_kind:     global_buffer
      - .offset:         88
        .size:           8
        .value_kind:     by_value
      - .offset:         96
        .size:           8
        .value_kind:     by_value
      - .offset:         104
        .size:           8
        .value_kind:     by_value
      - .address_space:  global
        .offset:         112
        .size:           8
        .value_kind:     global_buffer
      - .offset:         120
        .size:           8
        .value_kind:     by_value
      - .offset:         128
        .size:           8
        .value_kind:     by_value
      - .offset:         136
        .size:           4
        .value_kind:     by_value
      - .offset:         140
        .size:           4
        .value_kind:     by_value
      - .offset:         144
        .size:           1
        .value_kind:     by_value
    .group_segment_fixed_size: 6144
    .kernarg_segment_align: 8
    .kernarg_segment_size: 148
    .language:       OpenCL C
    .language_version:
      - 2
      - 0
    .max_flat_workgroup_size: 256
    .name:           _ZN9rocsparseL31bsrmm_large_blockdim_kernel_extILj16ELj16ELj2Ell21rocsparse_complex_numIfES2_S2_S2_EEvb20rocsparse_direction_T3_S4_llNS_24const_host_device_scalarIT7_EEPKT2_PKS4_PKT4_S4_PKT5_llS7_PT6_ll16rocsparse_order_21rocsparse_index_base_b
    .private_segment_fixed_size: 0
    .sgpr_count:     40
    .sgpr_spill_count: 0
    .symbol:         _ZN9rocsparseL31bsrmm_large_blockdim_kernel_extILj16ELj16ELj2Ell21rocsparse_complex_numIfES2_S2_S2_EEvb20rocsparse_direction_T3_S4_llNS_24const_host_device_scalarIT7_EEPKT2_PKS4_PKT4_S4_PKT5_llS7_PT6_ll16rocsparse_order_21rocsparse_index_base_b.kd
    .uniform_work_group_size: 1
    .uses_dynamic_stack: false
    .vgpr_count:     36
    .vgpr_spill_count: 0
    .wavefront_size: 32
  - .args:
      - .offset:         0
        .size:           1
        .value_kind:     by_value
      - .offset:         4
        .size:           4
        .value_kind:     by_value
      - .offset:         8
        .size:           8
        .value_kind:     by_value
      - .offset:         16
        .size:           8
        .value_kind:     by_value
      - .offset:         24
        .size:           8
        .value_kind:     by_value
      - .offset:         32
        .size:           8
        .value_kind:     by_value
      - .offset:         40
        .size:           8
        .value_kind:     by_value
      - .actual_access:  read_only
        .address_space:  global
        .offset:         48
        .size:           8
        .value_kind:     global_buffer
      - .actual_access:  read_only
        .address_space:  global
        .offset:         56
        .size:           8
        .value_kind:     global_buffer
      - .actual_access:  read_only
        .address_space:  global
        .offset:         64
        .size:           8
        .value_kind:     global_buffer
      - .offset:         72
        .size:           8
        .value_kind:     by_value
      - .actual_access:  read_only
        .address_space:  global
        .offset:         80
        .size:           8
        .value_kind:     global_buffer
      - .offset:         88
        .size:           8
        .value_kind:     by_value
      - .offset:         96
        .size:           8
        .value_kind:     by_value
      - .offset:         104
        .size:           8
        .value_kind:     by_value
      - .address_space:  global
        .offset:         112
        .size:           8
        .value_kind:     global_buffer
      - .offset:         120
        .size:           8
        .value_kind:     by_value
      - .offset:         128
        .size:           8
        .value_kind:     by_value
      - .offset:         136
        .size:           4
        .value_kind:     by_value
      - .offset:         140
        .size:           4
        .value_kind:     by_value
      - .offset:         144
        .size:           1
        .value_kind:     by_value
    .group_segment_fixed_size: 24576
    .kernarg_segment_align: 8
    .kernarg_segment_size: 148
    .language:       OpenCL C
    .language_version:
      - 2
      - 0
    .max_flat_workgroup_size: 1024
    .name:           _ZN9rocsparseL31bsrmm_large_blockdim_kernel_extILj32ELj32ELj2Ell21rocsparse_complex_numIfES2_S2_S2_EEvb20rocsparse_direction_T3_S4_llNS_24const_host_device_scalarIT7_EEPKT2_PKS4_PKT4_S4_PKT5_llS7_PT6_ll16rocsparse_order_21rocsparse_index_base_b
    .private_segment_fixed_size: 0
    .sgpr_count:     40
    .sgpr_spill_count: 0
    .symbol:         _ZN9rocsparseL31bsrmm_large_blockdim_kernel_extILj32ELj32ELj2Ell21rocsparse_complex_numIfES2_S2_S2_EEvb20rocsparse_direction_T3_S4_llNS_24const_host_device_scalarIT7_EEPKT2_PKS4_PKT4_S4_PKT5_llS7_PT6_ll16rocsparse_order_21rocsparse_index_base_b.kd
    .uniform_work_group_size: 1
    .uses_dynamic_stack: false
    .vgpr_count:     36
    .vgpr_spill_count: 0
    .wavefront_size: 32
  - .args:
      - .offset:         0
        .size:           1
        .value_kind:     by_value
      - .offset:         4
        .size:           4
        .value_kind:     by_value
      - .offset:         8
        .size:           4
        .value_kind:     by_value
      - .offset:         12
        .size:           4
        .value_kind:     by_value
      - .offset:         16
        .size:           8
        .value_kind:     by_value
      - .offset:         24
        .size:           8
        .value_kind:     by_value
      - .offset:         32
        .size:           16
        .value_kind:     by_value
      - .actual_access:  read_only
        .address_space:  global
        .offset:         48
        .size:           8
        .value_kind:     global_buffer
      - .actual_access:  read_only
        .address_space:  global
        .offset:         56
        .size:           8
        .value_kind:     global_buffer
      - .actual_access:  read_only
        .address_space:  global
        .offset:         64
        .size:           8
        .value_kind:     global_buffer
      - .offset:         72
        .size:           4
        .value_kind:     by_value
      - .actual_access:  read_only
        .address_space:  global
        .offset:         80
        .size:           8
        .value_kind:     global_buffer
      - .offset:         88
        .size:           8
        .value_kind:     by_value
      - .offset:         96
        .size:           8
        .value_kind:     by_value
      - .offset:         104
        .size:           16
        .value_kind:     by_value
      - .address_space:  global
        .offset:         120
        .size:           8
        .value_kind:     global_buffer
      - .offset:         128
        .size:           8
        .value_kind:     by_value
      - .offset:         136
        .size:           8
        .value_kind:     by_value
      - .offset:         144
        .size:           4
        .value_kind:     by_value
      - .offset:         148
        .size:           4
        .value_kind:     by_value
      - .offset:         152
        .size:           1
        .value_kind:     by_value
    .group_segment_fixed_size: 3072
    .kernarg_segment_align: 8
    .kernarg_segment_size: 156
    .language:       OpenCL C
    .language_version:
      - 2
      - 0
    .max_flat_workgroup_size: 64
    .name:           _ZN9rocsparseL31bsrmm_large_blockdim_kernel_extILj8ELj8ELj2Eii21rocsparse_complex_numIdES2_S2_S2_EEvb20rocsparse_direction_T3_S4_llNS_24const_host_device_scalarIT7_EEPKT2_PKS4_PKT4_S4_PKT5_llS7_PT6_ll16rocsparse_order_21rocsparse_index_base_b
    .private_segment_fixed_size: 0
    .sgpr_count:     30
    .sgpr_spill_count: 0
    .symbol:         _ZN9rocsparseL31bsrmm_large_blockdim_kernel_extILj8ELj8ELj2Eii21rocsparse_complex_numIdES2_S2_S2_EEvb20rocsparse_direction_T3_S4_llNS_24const_host_device_scalarIT7_EEPKT2_PKS4_PKT4_S4_PKT5_llS7_PT6_ll16rocsparse_order_21rocsparse_index_base_b.kd
    .uniform_work_group_size: 1
    .uses_dynamic_stack: false
    .vgpr_count:     44
    .vgpr_spill_count: 0
    .wavefront_size: 32
  - .args:
      - .offset:         0
        .size:           1
        .value_kind:     by_value
      - .offset:         4
        .size:           4
        .value_kind:     by_value
      - .offset:         8
        .size:           4
        .value_kind:     by_value
      - .offset:         12
        .size:           4
        .value_kind:     by_value
      - .offset:         16
        .size:           8
        .value_kind:     by_value
      - .offset:         24
        .size:           8
        .value_kind:     by_value
      - .offset:         32
        .size:           16
        .value_kind:     by_value
      - .actual_access:  read_only
        .address_space:  global
        .offset:         48
        .size:           8
        .value_kind:     global_buffer
      - .actual_access:  read_only
        .address_space:  global
        .offset:         56
        .size:           8
        .value_kind:     global_buffer
      - .actual_access:  read_only
        .address_space:  global
        .offset:         64
        .size:           8
        .value_kind:     global_buffer
      - .offset:         72
        .size:           4
        .value_kind:     by_value
      - .actual_access:  read_only
        .address_space:  global
        .offset:         80
        .size:           8
        .value_kind:     global_buffer
      - .offset:         88
        .size:           8
        .value_kind:     by_value
      - .offset:         96
        .size:           8
        .value_kind:     by_value
      - .offset:         104
        .size:           16
        .value_kind:     by_value
      - .address_space:  global
        .offset:         120
        .size:           8
        .value_kind:     global_buffer
      - .offset:         128
        .size:           8
        .value_kind:     by_value
      - .offset:         136
        .size:           8
        .value_kind:     by_value
      - .offset:         144
        .size:           4
        .value_kind:     by_value
      - .offset:         148
        .size:           4
        .value_kind:     by_value
      - .offset:         152
        .size:           1
        .value_kind:     by_value
    .group_segment_fixed_size: 2304
    .kernarg_segment_align: 8
    .kernarg_segment_size: 156
    .language:       OpenCL C
    .language_version:
      - 2
      - 0
    .max_flat_workgroup_size: 64
    .name:           _ZN9rocsparseL31bsrmm_large_blockdim_kernel_extILj4ELj16ELj2Eii21rocsparse_complex_numIdES2_S2_S2_EEvb20rocsparse_direction_T3_S4_llNS_24const_host_device_scalarIT7_EEPKT2_PKS4_PKT4_S4_PKT5_llS7_PT6_ll16rocsparse_order_21rocsparse_index_base_b
    .private_segment_fixed_size: 0
    .sgpr_count:     30
    .sgpr_spill_count: 0
    .symbol:         _ZN9rocsparseL31bsrmm_large_blockdim_kernel_extILj4ELj16ELj2Eii21rocsparse_complex_numIdES2_S2_S2_EEvb20rocsparse_direction_T3_S4_llNS_24const_host_device_scalarIT7_EEPKT2_PKS4_PKT4_S4_PKT5_llS7_PT6_ll16rocsparse_order_21rocsparse_index_base_b.kd
    .uniform_work_group_size: 1
    .uses_dynamic_stack: false
    .vgpr_count:     44
    .vgpr_spill_count: 0
    .wavefront_size: 32
  - .args:
      - .offset:         0
        .size:           1
        .value_kind:     by_value
      - .offset:         4
        .size:           4
        .value_kind:     by_value
      - .offset:         8
        .size:           4
        .value_kind:     by_value
      - .offset:         12
        .size:           4
        .value_kind:     by_value
      - .offset:         16
        .size:           8
        .value_kind:     by_value
      - .offset:         24
        .size:           8
        .value_kind:     by_value
      - .offset:         32
        .size:           16
        .value_kind:     by_value
      - .actual_access:  read_only
        .address_space:  global
        .offset:         48
        .size:           8
        .value_kind:     global_buffer
      - .actual_access:  read_only
        .address_space:  global
        .offset:         56
        .size:           8
        .value_kind:     global_buffer
      - .actual_access:  read_only
        .address_space:  global
        .offset:         64
        .size:           8
        .value_kind:     global_buffer
      - .offset:         72
        .size:           4
        .value_kind:     by_value
      - .actual_access:  read_only
        .address_space:  global
        .offset:         80
        .size:           8
        .value_kind:     global_buffer
      - .offset:         88
        .size:           8
        .value_kind:     by_value
      - .offset:         96
        .size:           8
        .value_kind:     by_value
      - .offset:         104
        .size:           16
        .value_kind:     by_value
      - .address_space:  global
        .offset:         120
        .size:           8
        .value_kind:     global_buffer
      - .offset:         128
        .size:           8
        .value_kind:     by_value
      - .offset:         136
        .size:           8
        .value_kind:     by_value
      - .offset:         144
        .size:           4
        .value_kind:     by_value
      - .offset:         148
        .size:           4
        .value_kind:     by_value
      - .offset:         152
        .size:           1
        .value_kind:     by_value
    .group_segment_fixed_size: 12288
    .kernarg_segment_align: 8
    .kernarg_segment_size: 156
    .language:       OpenCL C
    .language_version:
      - 2
      - 0
    .max_flat_workgroup_size: 256
    .name:           _ZN9rocsparseL31bsrmm_large_blockdim_kernel_extILj16ELj16ELj2Eii21rocsparse_complex_numIdES2_S2_S2_EEvb20rocsparse_direction_T3_S4_llNS_24const_host_device_scalarIT7_EEPKT2_PKS4_PKT4_S4_PKT5_llS7_PT6_ll16rocsparse_order_21rocsparse_index_base_b
    .private_segment_fixed_size: 0
    .sgpr_count:     30
    .sgpr_spill_count: 0
    .symbol:         _ZN9rocsparseL31bsrmm_large_blockdim_kernel_extILj16ELj16ELj2Eii21rocsparse_complex_numIdES2_S2_S2_EEvb20rocsparse_direction_T3_S4_llNS_24const_host_device_scalarIT7_EEPKT2_PKS4_PKT4_S4_PKT5_llS7_PT6_ll16rocsparse_order_21rocsparse_index_base_b.kd
    .uniform_work_group_size: 1
    .uses_dynamic_stack: false
    .vgpr_count:     44
    .vgpr_spill_count: 0
    .wavefront_size: 32
  - .args:
      - .offset:         0
        .size:           1
        .value_kind:     by_value
      - .offset:         4
        .size:           4
        .value_kind:     by_value
      - .offset:         8
        .size:           4
        .value_kind:     by_value
      - .offset:         12
        .size:           4
        .value_kind:     by_value
      - .offset:         16
        .size:           8
        .value_kind:     by_value
      - .offset:         24
        .size:           8
        .value_kind:     by_value
      - .offset:         32
        .size:           16
        .value_kind:     by_value
      - .actual_access:  read_only
        .address_space:  global
        .offset:         48
        .size:           8
        .value_kind:     global_buffer
      - .actual_access:  read_only
        .address_space:  global
        .offset:         56
        .size:           8
        .value_kind:     global_buffer
      - .actual_access:  read_only
        .address_space:  global
        .offset:         64
        .size:           8
        .value_kind:     global_buffer
      - .offset:         72
        .size:           4
        .value_kind:     by_value
      - .actual_access:  read_only
        .address_space:  global
        .offset:         80
        .size:           8
        .value_kind:     global_buffer
      - .offset:         88
        .size:           8
        .value_kind:     by_value
      - .offset:         96
        .size:           8
        .value_kind:     by_value
      - .offset:         104
        .size:           16
        .value_kind:     by_value
      - .address_space:  global
        .offset:         120
        .size:           8
        .value_kind:     global_buffer
      - .offset:         128
        .size:           8
        .value_kind:     by_value
      - .offset:         136
        .size:           8
        .value_kind:     by_value
      - .offset:         144
        .size:           4
        .value_kind:     by_value
      - .offset:         148
        .size:           4
        .value_kind:     by_value
      - .offset:         152
        .size:           1
        .value_kind:     by_value
    .group_segment_fixed_size: 49152
    .kernarg_segment_align: 8
    .kernarg_segment_size: 156
    .language:       OpenCL C
    .language_version:
      - 2
      - 0
    .max_flat_workgroup_size: 1024
    .name:           _ZN9rocsparseL31bsrmm_large_blockdim_kernel_extILj32ELj32ELj2Eii21rocsparse_complex_numIdES2_S2_S2_EEvb20rocsparse_direction_T3_S4_llNS_24const_host_device_scalarIT7_EEPKT2_PKS4_PKT4_S4_PKT5_llS7_PT6_ll16rocsparse_order_21rocsparse_index_base_b
    .private_segment_fixed_size: 0
    .sgpr_count:     30
    .sgpr_spill_count: 0
    .symbol:         _ZN9rocsparseL31bsrmm_large_blockdim_kernel_extILj32ELj32ELj2Eii21rocsparse_complex_numIdES2_S2_S2_EEvb20rocsparse_direction_T3_S4_llNS_24const_host_device_scalarIT7_EEPKT2_PKS4_PKT4_S4_PKT5_llS7_PT6_ll16rocsparse_order_21rocsparse_index_base_b.kd
    .uniform_work_group_size: 1
    .uses_dynamic_stack: false
    .vgpr_count:     44
    .vgpr_spill_count: 0
    .wavefront_size: 32
  - .args:
      - .offset:         0
        .size:           1
        .value_kind:     by_value
      - .offset:         4
        .size:           4
        .value_kind:     by_value
      - .offset:         8
        .size:           4
        .value_kind:     by_value
      - .offset:         12
        .size:           4
        .value_kind:     by_value
      - .offset:         16
        .size:           8
        .value_kind:     by_value
      - .offset:         24
        .size:           8
        .value_kind:     by_value
      - .offset:         32
        .size:           16
        .value_kind:     by_value
      - .actual_access:  read_only
        .address_space:  global
        .offset:         48
        .size:           8
        .value_kind:     global_buffer
      - .actual_access:  read_only
        .address_space:  global
        .offset:         56
        .size:           8
        .value_kind:     global_buffer
      - .actual_access:  read_only
        .address_space:  global
        .offset:         64
        .size:           8
        .value_kind:     global_buffer
      - .offset:         72
        .size:           4
        .value_kind:     by_value
      - .actual_access:  read_only
        .address_space:  global
        .offset:         80
        .size:           8
        .value_kind:     global_buffer
      - .offset:         88
        .size:           8
        .value_kind:     by_value
      - .offset:         96
        .size:           8
        .value_kind:     by_value
      - .offset:         104
        .size:           16
        .value_kind:     by_value
      - .address_space:  global
        .offset:         120
        .size:           8
        .value_kind:     global_buffer
      - .offset:         128
        .size:           8
        .value_kind:     by_value
      - .offset:         136
        .size:           8
        .value_kind:     by_value
      - .offset:         144
        .size:           4
        .value_kind:     by_value
      - .offset:         148
        .size:           4
        .value_kind:     by_value
      - .offset:         152
        .size:           1
        .value_kind:     by_value
    .group_segment_fixed_size: 3072
    .kernarg_segment_align: 8
    .kernarg_segment_size: 156
    .language:       OpenCL C
    .language_version:
      - 2
      - 0
    .max_flat_workgroup_size: 64
    .name:           _ZN9rocsparseL31bsrmm_large_blockdim_kernel_extILj8ELj8ELj2Eli21rocsparse_complex_numIdES2_S2_S2_EEvb20rocsparse_direction_T3_S4_llNS_24const_host_device_scalarIT7_EEPKT2_PKS4_PKT4_S4_PKT5_llS7_PT6_ll16rocsparse_order_21rocsparse_index_base_b
    .private_segment_fixed_size: 0
    .sgpr_count:     31
    .sgpr_spill_count: 0
    .symbol:         _ZN9rocsparseL31bsrmm_large_blockdim_kernel_extILj8ELj8ELj2Eli21rocsparse_complex_numIdES2_S2_S2_EEvb20rocsparse_direction_T3_S4_llNS_24const_host_device_scalarIT7_EEPKT2_PKS4_PKT4_S4_PKT5_llS7_PT6_ll16rocsparse_order_21rocsparse_index_base_b.kd
    .uniform_work_group_size: 1
    .uses_dynamic_stack: false
    .vgpr_count:     46
    .vgpr_spill_count: 0
    .wavefront_size: 32
  - .args:
      - .offset:         0
        .size:           1
        .value_kind:     by_value
      - .offset:         4
        .size:           4
        .value_kind:     by_value
      - .offset:         8
        .size:           4
        .value_kind:     by_value
      - .offset:         12
        .size:           4
        .value_kind:     by_value
      - .offset:         16
        .size:           8
        .value_kind:     by_value
      - .offset:         24
        .size:           8
        .value_kind:     by_value
      - .offset:         32
        .size:           16
        .value_kind:     by_value
      - .actual_access:  read_only
        .address_space:  global
        .offset:         48
        .size:           8
        .value_kind:     global_buffer
      - .actual_access:  read_only
        .address_space:  global
        .offset:         56
        .size:           8
        .value_kind:     global_buffer
      - .actual_access:  read_only
        .address_space:  global
        .offset:         64
        .size:           8
        .value_kind:     global_buffer
      - .offset:         72
        .size:           4
        .value_kind:     by_value
      - .actual_access:  read_only
        .address_space:  global
        .offset:         80
        .size:           8
        .value_kind:     global_buffer
      - .offset:         88
        .size:           8
        .value_kind:     by_value
      - .offset:         96
        .size:           8
        .value_kind:     by_value
      - .offset:         104
        .size:           16
        .value_kind:     by_value
      - .address_space:  global
        .offset:         120
        .size:           8
        .value_kind:     global_buffer
      - .offset:         128
        .size:           8
        .value_kind:     by_value
      - .offset:         136
        .size:           8
        .value_kind:     by_value
      - .offset:         144
        .size:           4
        .value_kind:     by_value
      - .offset:         148
        .size:           4
        .value_kind:     by_value
      - .offset:         152
        .size:           1
        .value_kind:     by_value
    .group_segment_fixed_size: 2304
    .kernarg_segment_align: 8
    .kernarg_segment_size: 156
    .language:       OpenCL C
    .language_version:
      - 2
      - 0
    .max_flat_workgroup_size: 64
    .name:           _ZN9rocsparseL31bsrmm_large_blockdim_kernel_extILj4ELj16ELj2Eli21rocsparse_complex_numIdES2_S2_S2_EEvb20rocsparse_direction_T3_S4_llNS_24const_host_device_scalarIT7_EEPKT2_PKS4_PKT4_S4_PKT5_llS7_PT6_ll16rocsparse_order_21rocsparse_index_base_b
    .private_segment_fixed_size: 0
    .sgpr_count:     31
    .sgpr_spill_count: 0
    .symbol:         _ZN9rocsparseL31bsrmm_large_blockdim_kernel_extILj4ELj16ELj2Eli21rocsparse_complex_numIdES2_S2_S2_EEvb20rocsparse_direction_T3_S4_llNS_24const_host_device_scalarIT7_EEPKT2_PKS4_PKT4_S4_PKT5_llS7_PT6_ll16rocsparse_order_21rocsparse_index_base_b.kd
    .uniform_work_group_size: 1
    .uses_dynamic_stack: false
    .vgpr_count:     46
    .vgpr_spill_count: 0
    .wavefront_size: 32
  - .args:
      - .offset:         0
        .size:           1
        .value_kind:     by_value
      - .offset:         4
        .size:           4
        .value_kind:     by_value
      - .offset:         8
        .size:           4
        .value_kind:     by_value
      - .offset:         12
        .size:           4
        .value_kind:     by_value
      - .offset:         16
        .size:           8
        .value_kind:     by_value
      - .offset:         24
        .size:           8
        .value_kind:     by_value
      - .offset:         32
        .size:           16
        .value_kind:     by_value
      - .actual_access:  read_only
        .address_space:  global
        .offset:         48
        .size:           8
        .value_kind:     global_buffer
      - .actual_access:  read_only
        .address_space:  global
        .offset:         56
        .size:           8
        .value_kind:     global_buffer
      - .actual_access:  read_only
        .address_space:  global
        .offset:         64
        .size:           8
        .value_kind:     global_buffer
      - .offset:         72
        .size:           4
        .value_kind:     by_value
      - .actual_access:  read_only
        .address_space:  global
        .offset:         80
        .size:           8
        .value_kind:     global_buffer
      - .offset:         88
        .size:           8
        .value_kind:     by_value
      - .offset:         96
        .size:           8
        .value_kind:     by_value
      - .offset:         104
        .size:           16
        .value_kind:     by_value
      - .address_space:  global
        .offset:         120
        .size:           8
        .value_kind:     global_buffer
      - .offset:         128
        .size:           8
        .value_kind:     by_value
      - .offset:         136
        .size:           8
        .value_kind:     by_value
      - .offset:         144
        .size:           4
        .value_kind:     by_value
      - .offset:         148
        .size:           4
        .value_kind:     by_value
      - .offset:         152
        .size:           1
        .value_kind:     by_value
    .group_segment_fixed_size: 12288
    .kernarg_segment_align: 8
    .kernarg_segment_size: 156
    .language:       OpenCL C
    .language_version:
      - 2
      - 0
    .max_flat_workgroup_size: 256
    .name:           _ZN9rocsparseL31bsrmm_large_blockdim_kernel_extILj16ELj16ELj2Eli21rocsparse_complex_numIdES2_S2_S2_EEvb20rocsparse_direction_T3_S4_llNS_24const_host_device_scalarIT7_EEPKT2_PKS4_PKT4_S4_PKT5_llS7_PT6_ll16rocsparse_order_21rocsparse_index_base_b
    .private_segment_fixed_size: 0
    .sgpr_count:     31
    .sgpr_spill_count: 0
    .symbol:         _ZN9rocsparseL31bsrmm_large_blockdim_kernel_extILj16ELj16ELj2Eli21rocsparse_complex_numIdES2_S2_S2_EEvb20rocsparse_direction_T3_S4_llNS_24const_host_device_scalarIT7_EEPKT2_PKS4_PKT4_S4_PKT5_llS7_PT6_ll16rocsparse_order_21rocsparse_index_base_b.kd
    .uniform_work_group_size: 1
    .uses_dynamic_stack: false
    .vgpr_count:     46
    .vgpr_spill_count: 0
    .wavefront_size: 32
  - .args:
      - .offset:         0
        .size:           1
        .value_kind:     by_value
      - .offset:         4
        .size:           4
        .value_kind:     by_value
      - .offset:         8
        .size:           4
        .value_kind:     by_value
      - .offset:         12
        .size:           4
        .value_kind:     by_value
      - .offset:         16
        .size:           8
        .value_kind:     by_value
      - .offset:         24
        .size:           8
        .value_kind:     by_value
      - .offset:         32
        .size:           16
        .value_kind:     by_value
      - .actual_access:  read_only
        .address_space:  global
        .offset:         48
        .size:           8
        .value_kind:     global_buffer
      - .actual_access:  read_only
        .address_space:  global
        .offset:         56
        .size:           8
        .value_kind:     global_buffer
      - .actual_access:  read_only
        .address_space:  global
        .offset:         64
        .size:           8
        .value_kind:     global_buffer
      - .offset:         72
        .size:           4
        .value_kind:     by_value
      - .actual_access:  read_only
        .address_space:  global
        .offset:         80
        .size:           8
        .value_kind:     global_buffer
      - .offset:         88
        .size:           8
        .value_kind:     by_value
      - .offset:         96
        .size:           8
        .value_kind:     by_value
      - .offset:         104
        .size:           16
        .value_kind:     by_value
      - .address_space:  global
        .offset:         120
        .size:           8
        .value_kind:     global_buffer
      - .offset:         128
        .size:           8
        .value_kind:     by_value
      - .offset:         136
        .size:           8
        .value_kind:     by_value
      - .offset:         144
        .size:           4
        .value_kind:     by_value
      - .offset:         148
        .size:           4
        .value_kind:     by_value
      - .offset:         152
        .size:           1
        .value_kind:     by_value
    .group_segment_fixed_size: 49152
    .kernarg_segment_align: 8
    .kernarg_segment_size: 156
    .language:       OpenCL C
    .language_version:
      - 2
      - 0
    .max_flat_workgroup_size: 1024
    .name:           _ZN9rocsparseL31bsrmm_large_blockdim_kernel_extILj32ELj32ELj2Eli21rocsparse_complex_numIdES2_S2_S2_EEvb20rocsparse_direction_T3_S4_llNS_24const_host_device_scalarIT7_EEPKT2_PKS4_PKT4_S4_PKT5_llS7_PT6_ll16rocsparse_order_21rocsparse_index_base_b
    .private_segment_fixed_size: 0
    .sgpr_count:     31
    .sgpr_spill_count: 0
    .symbol:         _ZN9rocsparseL31bsrmm_large_blockdim_kernel_extILj32ELj32ELj2Eli21rocsparse_complex_numIdES2_S2_S2_EEvb20rocsparse_direction_T3_S4_llNS_24const_host_device_scalarIT7_EEPKT2_PKS4_PKT4_S4_PKT5_llS7_PT6_ll16rocsparse_order_21rocsparse_index_base_b.kd
    .uniform_work_group_size: 1
    .uses_dynamic_stack: false
    .vgpr_count:     46
    .vgpr_spill_count: 0
    .wavefront_size: 32
  - .args:
      - .offset:         0
        .size:           1
        .value_kind:     by_value
      - .offset:         4
        .size:           4
        .value_kind:     by_value
      - .offset:         8
        .size:           8
        .value_kind:     by_value
      - .offset:         16
        .size:           8
        .value_kind:     by_value
      - .offset:         24
        .size:           8
        .value_kind:     by_value
      - .offset:         32
        .size:           8
        .value_kind:     by_value
      - .offset:         40
        .size:           16
        .value_kind:     by_value
      - .actual_access:  read_only
        .address_space:  global
        .offset:         56
        .size:           8
        .value_kind:     global_buffer
      - .actual_access:  read_only
        .address_space:  global
        .offset:         64
        .size:           8
        .value_kind:     global_buffer
      - .actual_access:  read_only
        .address_space:  global
        .offset:         72
        .size:           8
        .value_kind:     global_buffer
      - .offset:         80
        .size:           8
        .value_kind:     by_value
      - .actual_access:  read_only
        .address_space:  global
        .offset:         88
        .size:           8
        .value_kind:     global_buffer
      - .offset:         96
        .size:           8
        .value_kind:     by_value
      - .offset:         104
        .size:           8
        .value_kind:     by_value
      - .offset:         112
        .size:           16
        .value_kind:     by_value
      - .address_space:  global
        .offset:         128
        .size:           8
        .value_kind:     global_buffer
      - .offset:         136
        .size:           8
        .value_kind:     by_value
      - .offset:         144
        .size:           8
        .value_kind:     by_value
      - .offset:         152
        .size:           4
        .value_kind:     by_value
      - .offset:         156
        .size:           4
        .value_kind:     by_value
      - .offset:         160
        .size:           1
        .value_kind:     by_value
    .group_segment_fixed_size: 3072
    .kernarg_segment_align: 8
    .kernarg_segment_size: 164
    .language:       OpenCL C
    .language_version:
      - 2
      - 0
    .max_flat_workgroup_size: 64
    .name:           _ZN9rocsparseL31bsrmm_large_blockdim_kernel_extILj8ELj8ELj2Ell21rocsparse_complex_numIdES2_S2_S2_EEvb20rocsparse_direction_T3_S4_llNS_24const_host_device_scalarIT7_EEPKT2_PKS4_PKT4_S4_PKT5_llS7_PT6_ll16rocsparse_order_21rocsparse_index_base_b
    .private_segment_fixed_size: 0
    .sgpr_count:     40
    .sgpr_spill_count: 0
    .symbol:         _ZN9rocsparseL31bsrmm_large_blockdim_kernel_extILj8ELj8ELj2Ell21rocsparse_complex_numIdES2_S2_S2_EEvb20rocsparse_direction_T3_S4_llNS_24const_host_device_scalarIT7_EEPKT2_PKS4_PKT4_S4_PKT5_llS7_PT6_ll16rocsparse_order_21rocsparse_index_base_b.kd
    .uniform_work_group_size: 1
    .uses_dynamic_stack: false
    .vgpr_count:     48
    .vgpr_spill_count: 0
    .wavefront_size: 32
  - .args:
      - .offset:         0
        .size:           1
        .value_kind:     by_value
      - .offset:         4
        .size:           4
        .value_kind:     by_value
      - .offset:         8
        .size:           8
        .value_kind:     by_value
      - .offset:         16
        .size:           8
        .value_kind:     by_value
      - .offset:         24
        .size:           8
        .value_kind:     by_value
      - .offset:         32
        .size:           8
        .value_kind:     by_value
      - .offset:         40
        .size:           16
        .value_kind:     by_value
      - .actual_access:  read_only
        .address_space:  global
        .offset:         56
        .size:           8
        .value_kind:     global_buffer
      - .actual_access:  read_only
        .address_space:  global
        .offset:         64
        .size:           8
        .value_kind:     global_buffer
      - .actual_access:  read_only
        .address_space:  global
        .offset:         72
        .size:           8
        .value_kind:     global_buffer
      - .offset:         80
        .size:           8
        .value_kind:     by_value
      - .actual_access:  read_only
        .address_space:  global
        .offset:         88
        .size:           8
        .value_kind:     global_buffer
      - .offset:         96
        .size:           8
        .value_kind:     by_value
      - .offset:         104
        .size:           8
        .value_kind:     by_value
      - .offset:         112
        .size:           16
        .value_kind:     by_value
      - .address_space:  global
        .offset:         128
        .size:           8
        .value_kind:     global_buffer
      - .offset:         136
        .size:           8
        .value_kind:     by_value
      - .offset:         144
        .size:           8
        .value_kind:     by_value
      - .offset:         152
        .size:           4
        .value_kind:     by_value
      - .offset:         156
        .size:           4
        .value_kind:     by_value
      - .offset:         160
        .size:           1
        .value_kind:     by_value
    .group_segment_fixed_size: 2304
    .kernarg_segment_align: 8
    .kernarg_segment_size: 164
    .language:       OpenCL C
    .language_version:
      - 2
      - 0
    .max_flat_workgroup_size: 64
    .name:           _ZN9rocsparseL31bsrmm_large_blockdim_kernel_extILj4ELj16ELj2Ell21rocsparse_complex_numIdES2_S2_S2_EEvb20rocsparse_direction_T3_S4_llNS_24const_host_device_scalarIT7_EEPKT2_PKS4_PKT4_S4_PKT5_llS7_PT6_ll16rocsparse_order_21rocsparse_index_base_b
    .private_segment_fixed_size: 0
    .sgpr_count:     40
    .sgpr_spill_count: 0
    .symbol:         _ZN9rocsparseL31bsrmm_large_blockdim_kernel_extILj4ELj16ELj2Ell21rocsparse_complex_numIdES2_S2_S2_EEvb20rocsparse_direction_T3_S4_llNS_24const_host_device_scalarIT7_EEPKT2_PKS4_PKT4_S4_PKT5_llS7_PT6_ll16rocsparse_order_21rocsparse_index_base_b.kd
    .uniform_work_group_size: 1
    .uses_dynamic_stack: false
    .vgpr_count:     48
    .vgpr_spill_count: 0
    .wavefront_size: 32
  - .args:
      - .offset:         0
        .size:           1
        .value_kind:     by_value
      - .offset:         4
        .size:           4
        .value_kind:     by_value
      - .offset:         8
        .size:           8
        .value_kind:     by_value
      - .offset:         16
        .size:           8
        .value_kind:     by_value
      - .offset:         24
        .size:           8
        .value_kind:     by_value
      - .offset:         32
        .size:           8
        .value_kind:     by_value
      - .offset:         40
        .size:           16
        .value_kind:     by_value
      - .actual_access:  read_only
        .address_space:  global
        .offset:         56
        .size:           8
        .value_kind:     global_buffer
      - .actual_access:  read_only
        .address_space:  global
        .offset:         64
        .size:           8
        .value_kind:     global_buffer
      - .actual_access:  read_only
        .address_space:  global
        .offset:         72
        .size:           8
        .value_kind:     global_buffer
      - .offset:         80
        .size:           8
        .value_kind:     by_value
      - .actual_access:  read_only
        .address_space:  global
        .offset:         88
        .size:           8
        .value_kind:     global_buffer
      - .offset:         96
        .size:           8
        .value_kind:     by_value
      - .offset:         104
        .size:           8
        .value_kind:     by_value
      - .offset:         112
        .size:           16
        .value_kind:     by_value
      - .address_space:  global
        .offset:         128
        .size:           8
        .value_kind:     global_buffer
      - .offset:         136
        .size:           8
        .value_kind:     by_value
      - .offset:         144
        .size:           8
        .value_kind:     by_value
      - .offset:         152
        .size:           4
        .value_kind:     by_value
      - .offset:         156
        .size:           4
        .value_kind:     by_value
      - .offset:         160
        .size:           1
        .value_kind:     by_value
    .group_segment_fixed_size: 12288
    .kernarg_segment_align: 8
    .kernarg_segment_size: 164
    .language:       OpenCL C
    .language_version:
      - 2
      - 0
    .max_flat_workgroup_size: 256
    .name:           _ZN9rocsparseL31bsrmm_large_blockdim_kernel_extILj16ELj16ELj2Ell21rocsparse_complex_numIdES2_S2_S2_EEvb20rocsparse_direction_T3_S4_llNS_24const_host_device_scalarIT7_EEPKT2_PKS4_PKT4_S4_PKT5_llS7_PT6_ll16rocsparse_order_21rocsparse_index_base_b
    .private_segment_fixed_size: 0
    .sgpr_count:     40
    .sgpr_spill_count: 0
    .symbol:         _ZN9rocsparseL31bsrmm_large_blockdim_kernel_extILj16ELj16ELj2Ell21rocsparse_complex_numIdES2_S2_S2_EEvb20rocsparse_direction_T3_S4_llNS_24const_host_device_scalarIT7_EEPKT2_PKS4_PKT4_S4_PKT5_llS7_PT6_ll16rocsparse_order_21rocsparse_index_base_b.kd
    .uniform_work_group_size: 1
    .uses_dynamic_stack: false
    .vgpr_count:     48
    .vgpr_spill_count: 0
    .wavefront_size: 32
  - .args:
      - .offset:         0
        .size:           1
        .value_kind:     by_value
      - .offset:         4
        .size:           4
        .value_kind:     by_value
      - .offset:         8
        .size:           8
        .value_kind:     by_value
      - .offset:         16
        .size:           8
        .value_kind:     by_value
      - .offset:         24
        .size:           8
        .value_kind:     by_value
      - .offset:         32
        .size:           8
        .value_kind:     by_value
      - .offset:         40
        .size:           16
        .value_kind:     by_value
      - .actual_access:  read_only
        .address_space:  global
        .offset:         56
        .size:           8
        .value_kind:     global_buffer
      - .actual_access:  read_only
        .address_space:  global
        .offset:         64
        .size:           8
        .value_kind:     global_buffer
      - .actual_access:  read_only
        .address_space:  global
        .offset:         72
        .size:           8
        .value_kind:     global_buffer
      - .offset:         80
        .size:           8
        .value_kind:     by_value
      - .actual_access:  read_only
        .address_space:  global
        .offset:         88
        .size:           8
        .value_kind:     global_buffer
      - .offset:         96
        .size:           8
        .value_kind:     by_value
      - .offset:         104
        .size:           8
        .value_kind:     by_value
      - .offset:         112
        .size:           16
        .value_kind:     by_value
      - .address_space:  global
        .offset:         128
        .size:           8
        .value_kind:     global_buffer
      - .offset:         136
        .size:           8
        .value_kind:     by_value
      - .offset:         144
        .size:           8
        .value_kind:     by_value
      - .offset:         152
        .size:           4
        .value_kind:     by_value
      - .offset:         156
        .size:           4
        .value_kind:     by_value
      - .offset:         160
        .size:           1
        .value_kind:     by_value
    .group_segment_fixed_size: 49152
    .kernarg_segment_align: 8
    .kernarg_segment_size: 164
    .language:       OpenCL C
    .language_version:
      - 2
      - 0
    .max_flat_workgroup_size: 1024
    .name:           _ZN9rocsparseL31bsrmm_large_blockdim_kernel_extILj32ELj32ELj2Ell21rocsparse_complex_numIdES2_S2_S2_EEvb20rocsparse_direction_T3_S4_llNS_24const_host_device_scalarIT7_EEPKT2_PKS4_PKT4_S4_PKT5_llS7_PT6_ll16rocsparse_order_21rocsparse_index_base_b
    .private_segment_fixed_size: 0
    .sgpr_count:     40
    .sgpr_spill_count: 0
    .symbol:         _ZN9rocsparseL31bsrmm_large_blockdim_kernel_extILj32ELj32ELj2Ell21rocsparse_complex_numIdES2_S2_S2_EEvb20rocsparse_direction_T3_S4_llNS_24const_host_device_scalarIT7_EEPKT2_PKS4_PKT4_S4_PKT5_llS7_PT6_ll16rocsparse_order_21rocsparse_index_base_b.kd
    .uniform_work_group_size: 1
    .uses_dynamic_stack: false
    .vgpr_count:     48
    .vgpr_spill_count: 0
    .wavefront_size: 32
  - .args:
      - .offset:         0
        .size:           1
        .value_kind:     by_value
      - .offset:         4
        .size:           4
        .value_kind:     by_value
      - .offset:         8
        .size:           4
        .value_kind:     by_value
      - .offset:         12
        .size:           4
        .value_kind:     by_value
      - .offset:         16
        .size:           8
        .value_kind:     by_value
      - .offset:         24
        .size:           8
        .value_kind:     by_value
      - .offset:         32
        .size:           8
        .value_kind:     by_value
      - .actual_access:  read_only
        .address_space:  global
        .offset:         40
        .size:           8
        .value_kind:     global_buffer
      - .actual_access:  read_only
        .address_space:  global
        .offset:         48
        .size:           8
        .value_kind:     global_buffer
      - .actual_access:  read_only
        .address_space:  global
        .offset:         56
        .size:           8
        .value_kind:     global_buffer
      - .offset:         64
        .size:           4
        .value_kind:     by_value
      - .actual_access:  read_only
        .address_space:  global
        .offset:         72
        .size:           8
        .value_kind:     global_buffer
      - .offset:         80
        .size:           8
        .value_kind:     by_value
      - .offset:         88
        .size:           8
        .value_kind:     by_value
      - .offset:         96
        .size:           8
        .value_kind:     by_value
      - .address_space:  global
        .offset:         104
        .size:           8
        .value_kind:     global_buffer
      - .offset:         112
        .size:           8
        .value_kind:     by_value
      - .offset:         120
        .size:           8
        .value_kind:     by_value
      - .offset:         128
        .size:           4
        .value_kind:     by_value
      - .offset:         132
        .size:           4
        .value_kind:     by_value
      - .offset:         136
        .size:           1
        .value_kind:     by_value
    .group_segment_fixed_size: 768
    .kernarg_segment_align: 8
    .kernarg_segment_size: 140
    .language:       OpenCL C
    .language_version:
      - 2
      - 0
    .max_flat_workgroup_size: 64
    .name:           _ZN9rocsparseL31bsrmm_large_blockdim_kernel_extILj8ELj8ELj2EiiDF16_DF16_ffEEvb20rocsparse_direction_T3_S2_llNS_24const_host_device_scalarIT7_EEPKT2_PKS2_PKT4_S2_PKT5_llS5_PT6_ll16rocsparse_order_21rocsparse_index_base_b
    .private_segment_fixed_size: 0
    .sgpr_count:     32
    .sgpr_spill_count: 0
    .symbol:         _ZN9rocsparseL31bsrmm_large_blockdim_kernel_extILj8ELj8ELj2EiiDF16_DF16_ffEEvb20rocsparse_direction_T3_S2_llNS_24const_host_device_scalarIT7_EEPKT2_PKS2_PKT4_S2_PKT5_llS5_PT6_ll16rocsparse_order_21rocsparse_index_base_b.kd
    .uniform_work_group_size: 1
    .uses_dynamic_stack: false
    .vgpr_count:     26
    .vgpr_spill_count: 0
    .wavefront_size: 32
  - .args:
      - .offset:         0
        .size:           1
        .value_kind:     by_value
      - .offset:         4
        .size:           4
        .value_kind:     by_value
      - .offset:         8
        .size:           4
        .value_kind:     by_value
      - .offset:         12
        .size:           4
        .value_kind:     by_value
      - .offset:         16
        .size:           8
        .value_kind:     by_value
      - .offset:         24
        .size:           8
        .value_kind:     by_value
      - .offset:         32
        .size:           8
        .value_kind:     by_value
      - .actual_access:  read_only
        .address_space:  global
        .offset:         40
        .size:           8
        .value_kind:     global_buffer
      - .actual_access:  read_only
        .address_space:  global
        .offset:         48
        .size:           8
        .value_kind:     global_buffer
      - .actual_access:  read_only
        .address_space:  global
        .offset:         56
        .size:           8
        .value_kind:     global_buffer
      - .offset:         64
        .size:           4
        .value_kind:     by_value
      - .actual_access:  read_only
        .address_space:  global
        .offset:         72
        .size:           8
        .value_kind:     global_buffer
      - .offset:         80
        .size:           8
        .value_kind:     by_value
      - .offset:         88
        .size:           8
        .value_kind:     by_value
      - .offset:         96
        .size:           8
        .value_kind:     by_value
      - .address_space:  global
        .offset:         104
        .size:           8
        .value_kind:     global_buffer
      - .offset:         112
        .size:           8
        .value_kind:     by_value
      - .offset:         120
        .size:           8
        .value_kind:     by_value
      - .offset:         128
        .size:           4
        .value_kind:     by_value
      - .offset:         132
        .size:           4
        .value_kind:     by_value
      - .offset:         136
        .size:           1
        .value_kind:     by_value
    .group_segment_fixed_size: 576
    .kernarg_segment_align: 8
    .kernarg_segment_size: 140
    .language:       OpenCL C
    .language_version:
      - 2
      - 0
    .max_flat_workgroup_size: 64
    .name:           _ZN9rocsparseL31bsrmm_large_blockdim_kernel_extILj4ELj16ELj2EiiDF16_DF16_ffEEvb20rocsparse_direction_T3_S2_llNS_24const_host_device_scalarIT7_EEPKT2_PKS2_PKT4_S2_PKT5_llS5_PT6_ll16rocsparse_order_21rocsparse_index_base_b
    .private_segment_fixed_size: 0
    .sgpr_count:     32
    .sgpr_spill_count: 0
    .symbol:         _ZN9rocsparseL31bsrmm_large_blockdim_kernel_extILj4ELj16ELj2EiiDF16_DF16_ffEEvb20rocsparse_direction_T3_S2_llNS_24const_host_device_scalarIT7_EEPKT2_PKS2_PKT4_S2_PKT5_llS5_PT6_ll16rocsparse_order_21rocsparse_index_base_b.kd
    .uniform_work_group_size: 1
    .uses_dynamic_stack: false
    .vgpr_count:     26
    .vgpr_spill_count: 0
    .wavefront_size: 32
  - .args:
      - .offset:         0
        .size:           1
        .value_kind:     by_value
      - .offset:         4
        .size:           4
        .value_kind:     by_value
      - .offset:         8
        .size:           4
        .value_kind:     by_value
      - .offset:         12
        .size:           4
        .value_kind:     by_value
      - .offset:         16
        .size:           8
        .value_kind:     by_value
      - .offset:         24
        .size:           8
        .value_kind:     by_value
      - .offset:         32
        .size:           8
        .value_kind:     by_value
      - .actual_access:  read_only
        .address_space:  global
        .offset:         40
        .size:           8
        .value_kind:     global_buffer
      - .actual_access:  read_only
        .address_space:  global
        .offset:         48
        .size:           8
        .value_kind:     global_buffer
      - .actual_access:  read_only
        .address_space:  global
        .offset:         56
        .size:           8
        .value_kind:     global_buffer
      - .offset:         64
        .size:           4
        .value_kind:     by_value
      - .actual_access:  read_only
        .address_space:  global
        .offset:         72
        .size:           8
        .value_kind:     global_buffer
      - .offset:         80
        .size:           8
        .value_kind:     by_value
      - .offset:         88
        .size:           8
        .value_kind:     by_value
      - .offset:         96
        .size:           8
        .value_kind:     by_value
      - .address_space:  global
        .offset:         104
        .size:           8
        .value_kind:     global_buffer
      - .offset:         112
        .size:           8
        .value_kind:     by_value
      - .offset:         120
        .size:           8
        .value_kind:     by_value
      - .offset:         128
        .size:           4
        .value_kind:     by_value
      - .offset:         132
        .size:           4
        .value_kind:     by_value
      - .offset:         136
        .size:           1
        .value_kind:     by_value
    .group_segment_fixed_size: 3072
    .kernarg_segment_align: 8
    .kernarg_segment_size: 140
    .language:       OpenCL C
    .language_version:
      - 2
      - 0
    .max_flat_workgroup_size: 256
    .name:           _ZN9rocsparseL31bsrmm_large_blockdim_kernel_extILj16ELj16ELj2EiiDF16_DF16_ffEEvb20rocsparse_direction_T3_S2_llNS_24const_host_device_scalarIT7_EEPKT2_PKS2_PKT4_S2_PKT5_llS5_PT6_ll16rocsparse_order_21rocsparse_index_base_b
    .private_segment_fixed_size: 0
    .sgpr_count:     32
    .sgpr_spill_count: 0
    .symbol:         _ZN9rocsparseL31bsrmm_large_blockdim_kernel_extILj16ELj16ELj2EiiDF16_DF16_ffEEvb20rocsparse_direction_T3_S2_llNS_24const_host_device_scalarIT7_EEPKT2_PKS2_PKT4_S2_PKT5_llS5_PT6_ll16rocsparse_order_21rocsparse_index_base_b.kd
    .uniform_work_group_size: 1
    .uses_dynamic_stack: false
    .vgpr_count:     26
    .vgpr_spill_count: 0
    .wavefront_size: 32
  - .args:
      - .offset:         0
        .size:           1
        .value_kind:     by_value
      - .offset:         4
        .size:           4
        .value_kind:     by_value
      - .offset:         8
        .size:           4
        .value_kind:     by_value
      - .offset:         12
        .size:           4
        .value_kind:     by_value
      - .offset:         16
        .size:           8
        .value_kind:     by_value
      - .offset:         24
        .size:           8
        .value_kind:     by_value
      - .offset:         32
        .size:           8
        .value_kind:     by_value
      - .actual_access:  read_only
        .address_space:  global
        .offset:         40
        .size:           8
        .value_kind:     global_buffer
      - .actual_access:  read_only
        .address_space:  global
        .offset:         48
        .size:           8
        .value_kind:     global_buffer
      - .actual_access:  read_only
        .address_space:  global
        .offset:         56
        .size:           8
        .value_kind:     global_buffer
      - .offset:         64
        .size:           4
        .value_kind:     by_value
      - .actual_access:  read_only
        .address_space:  global
        .offset:         72
        .size:           8
        .value_kind:     global_buffer
      - .offset:         80
        .size:           8
        .value_kind:     by_value
      - .offset:         88
        .size:           8
        .value_kind:     by_value
      - .offset:         96
        .size:           8
        .value_kind:     by_value
      - .address_space:  global
        .offset:         104
        .size:           8
        .value_kind:     global_buffer
      - .offset:         112
        .size:           8
        .value_kind:     by_value
      - .offset:         120
        .size:           8
        .value_kind:     by_value
      - .offset:         128
        .size:           4
        .value_kind:     by_value
      - .offset:         132
        .size:           4
        .value_kind:     by_value
      - .offset:         136
        .size:           1
        .value_kind:     by_value
    .group_segment_fixed_size: 12288
    .kernarg_segment_align: 8
    .kernarg_segment_size: 140
    .language:       OpenCL C
    .language_version:
      - 2
      - 0
    .max_flat_workgroup_size: 1024
    .name:           _ZN9rocsparseL31bsrmm_large_blockdim_kernel_extILj32ELj32ELj2EiiDF16_DF16_ffEEvb20rocsparse_direction_T3_S2_llNS_24const_host_device_scalarIT7_EEPKT2_PKS2_PKT4_S2_PKT5_llS5_PT6_ll16rocsparse_order_21rocsparse_index_base_b
    .private_segment_fixed_size: 0
    .sgpr_count:     32
    .sgpr_spill_count: 0
    .symbol:         _ZN9rocsparseL31bsrmm_large_blockdim_kernel_extILj32ELj32ELj2EiiDF16_DF16_ffEEvb20rocsparse_direction_T3_S2_llNS_24const_host_device_scalarIT7_EEPKT2_PKS2_PKT4_S2_PKT5_llS5_PT6_ll16rocsparse_order_21rocsparse_index_base_b.kd
    .uniform_work_group_size: 1
    .uses_dynamic_stack: false
    .vgpr_count:     26
    .vgpr_spill_count: 0
    .wavefront_size: 32
  - .args:
      - .offset:         0
        .size:           1
        .value_kind:     by_value
      - .offset:         4
        .size:           4
        .value_kind:     by_value
      - .offset:         8
        .size:           4
        .value_kind:     by_value
      - .offset:         12
        .size:           4
        .value_kind:     by_value
      - .offset:         16
        .size:           8
        .value_kind:     by_value
      - .offset:         24
        .size:           8
        .value_kind:     by_value
      - .offset:         32
        .size:           8
        .value_kind:     by_value
      - .actual_access:  read_only
        .address_space:  global
        .offset:         40
        .size:           8
        .value_kind:     global_buffer
      - .actual_access:  read_only
        .address_space:  global
        .offset:         48
        .size:           8
        .value_kind:     global_buffer
      - .actual_access:  read_only
        .address_space:  global
        .offset:         56
        .size:           8
        .value_kind:     global_buffer
      - .offset:         64
        .size:           4
        .value_kind:     by_value
      - .actual_access:  read_only
        .address_space:  global
        .offset:         72
        .size:           8
        .value_kind:     global_buffer
      - .offset:         80
        .size:           8
        .value_kind:     by_value
      - .offset:         88
        .size:           8
        .value_kind:     by_value
      - .offset:         96
        .size:           8
        .value_kind:     by_value
      - .address_space:  global
        .offset:         104
        .size:           8
        .value_kind:     global_buffer
      - .offset:         112
        .size:           8
        .value_kind:     by_value
      - .offset:         120
        .size:           8
        .value_kind:     by_value
      - .offset:         128
        .size:           4
        .value_kind:     by_value
      - .offset:         132
        .size:           4
        .value_kind:     by_value
      - .offset:         136
        .size:           1
        .value_kind:     by_value
    .group_segment_fixed_size: 768
    .kernarg_segment_align: 8
    .kernarg_segment_size: 140
    .language:       OpenCL C
    .language_version:
      - 2
      - 0
    .max_flat_workgroup_size: 64
    .name:           _ZN9rocsparseL31bsrmm_large_blockdim_kernel_extILj8ELj8ELj2EliDF16_DF16_ffEEvb20rocsparse_direction_T3_S2_llNS_24const_host_device_scalarIT7_EEPKT2_PKS2_PKT4_S2_PKT5_llS5_PT6_ll16rocsparse_order_21rocsparse_index_base_b
    .private_segment_fixed_size: 0
    .sgpr_count:     38
    .sgpr_spill_count: 0
    .symbol:         _ZN9rocsparseL31bsrmm_large_blockdim_kernel_extILj8ELj8ELj2EliDF16_DF16_ffEEvb20rocsparse_direction_T3_S2_llNS_24const_host_device_scalarIT7_EEPKT2_PKS2_PKT4_S2_PKT5_llS5_PT6_ll16rocsparse_order_21rocsparse_index_base_b.kd
    .uniform_work_group_size: 1
    .uses_dynamic_stack: false
    .vgpr_count:     26
    .vgpr_spill_count: 0
    .wavefront_size: 32
  - .args:
      - .offset:         0
        .size:           1
        .value_kind:     by_value
      - .offset:         4
        .size:           4
        .value_kind:     by_value
      - .offset:         8
        .size:           4
        .value_kind:     by_value
      - .offset:         12
        .size:           4
        .value_kind:     by_value
      - .offset:         16
        .size:           8
        .value_kind:     by_value
      - .offset:         24
        .size:           8
        .value_kind:     by_value
      - .offset:         32
        .size:           8
        .value_kind:     by_value
      - .actual_access:  read_only
        .address_space:  global
        .offset:         40
        .size:           8
        .value_kind:     global_buffer
      - .actual_access:  read_only
        .address_space:  global
        .offset:         48
        .size:           8
        .value_kind:     global_buffer
      - .actual_access:  read_only
        .address_space:  global
        .offset:         56
        .size:           8
        .value_kind:     global_buffer
      - .offset:         64
        .size:           4
        .value_kind:     by_value
      - .actual_access:  read_only
        .address_space:  global
        .offset:         72
        .size:           8
        .value_kind:     global_buffer
      - .offset:         80
        .size:           8
        .value_kind:     by_value
      - .offset:         88
        .size:           8
        .value_kind:     by_value
      - .offset:         96
        .size:           8
        .value_kind:     by_value
      - .address_space:  global
        .offset:         104
        .size:           8
        .value_kind:     global_buffer
      - .offset:         112
        .size:           8
        .value_kind:     by_value
      - .offset:         120
        .size:           8
        .value_kind:     by_value
      - .offset:         128
        .size:           4
        .value_kind:     by_value
      - .offset:         132
        .size:           4
        .value_kind:     by_value
      - .offset:         136
        .size:           1
        .value_kind:     by_value
    .group_segment_fixed_size: 576
    .kernarg_segment_align: 8
    .kernarg_segment_size: 140
    .language:       OpenCL C
    .language_version:
      - 2
      - 0
    .max_flat_workgroup_size: 64
    .name:           _ZN9rocsparseL31bsrmm_large_blockdim_kernel_extILj4ELj16ELj2EliDF16_DF16_ffEEvb20rocsparse_direction_T3_S2_llNS_24const_host_device_scalarIT7_EEPKT2_PKS2_PKT4_S2_PKT5_llS5_PT6_ll16rocsparse_order_21rocsparse_index_base_b
    .private_segment_fixed_size: 0
    .sgpr_count:     38
    .sgpr_spill_count: 0
    .symbol:         _ZN9rocsparseL31bsrmm_large_blockdim_kernel_extILj4ELj16ELj2EliDF16_DF16_ffEEvb20rocsparse_direction_T3_S2_llNS_24const_host_device_scalarIT7_EEPKT2_PKS2_PKT4_S2_PKT5_llS5_PT6_ll16rocsparse_order_21rocsparse_index_base_b.kd
    .uniform_work_group_size: 1
    .uses_dynamic_stack: false
    .vgpr_count:     26
    .vgpr_spill_count: 0
    .wavefront_size: 32
  - .args:
      - .offset:         0
        .size:           1
        .value_kind:     by_value
      - .offset:         4
        .size:           4
        .value_kind:     by_value
      - .offset:         8
        .size:           4
        .value_kind:     by_value
      - .offset:         12
        .size:           4
        .value_kind:     by_value
      - .offset:         16
        .size:           8
        .value_kind:     by_value
      - .offset:         24
        .size:           8
        .value_kind:     by_value
      - .offset:         32
        .size:           8
        .value_kind:     by_value
      - .actual_access:  read_only
        .address_space:  global
        .offset:         40
        .size:           8
        .value_kind:     global_buffer
      - .actual_access:  read_only
        .address_space:  global
        .offset:         48
        .size:           8
        .value_kind:     global_buffer
      - .actual_access:  read_only
        .address_space:  global
        .offset:         56
        .size:           8
        .value_kind:     global_buffer
      - .offset:         64
        .size:           4
        .value_kind:     by_value
      - .actual_access:  read_only
        .address_space:  global
        .offset:         72
        .size:           8
        .value_kind:     global_buffer
      - .offset:         80
        .size:           8
        .value_kind:     by_value
      - .offset:         88
        .size:           8
        .value_kind:     by_value
      - .offset:         96
        .size:           8
        .value_kind:     by_value
      - .address_space:  global
        .offset:         104
        .size:           8
        .value_kind:     global_buffer
      - .offset:         112
        .size:           8
        .value_kind:     by_value
      - .offset:         120
        .size:           8
        .value_kind:     by_value
      - .offset:         128
        .size:           4
        .value_kind:     by_value
      - .offset:         132
        .size:           4
        .value_kind:     by_value
      - .offset:         136
        .size:           1
        .value_kind:     by_value
    .group_segment_fixed_size: 3072
    .kernarg_segment_align: 8
    .kernarg_segment_size: 140
    .language:       OpenCL C
    .language_version:
      - 2
      - 0
    .max_flat_workgroup_size: 256
    .name:           _ZN9rocsparseL31bsrmm_large_blockdim_kernel_extILj16ELj16ELj2EliDF16_DF16_ffEEvb20rocsparse_direction_T3_S2_llNS_24const_host_device_scalarIT7_EEPKT2_PKS2_PKT4_S2_PKT5_llS5_PT6_ll16rocsparse_order_21rocsparse_index_base_b
    .private_segment_fixed_size: 0
    .sgpr_count:     38
    .sgpr_spill_count: 0
    .symbol:         _ZN9rocsparseL31bsrmm_large_blockdim_kernel_extILj16ELj16ELj2EliDF16_DF16_ffEEvb20rocsparse_direction_T3_S2_llNS_24const_host_device_scalarIT7_EEPKT2_PKS2_PKT4_S2_PKT5_llS5_PT6_ll16rocsparse_order_21rocsparse_index_base_b.kd
    .uniform_work_group_size: 1
    .uses_dynamic_stack: false
    .vgpr_count:     26
    .vgpr_spill_count: 0
    .wavefront_size: 32
  - .args:
      - .offset:         0
        .size:           1
        .value_kind:     by_value
      - .offset:         4
        .size:           4
        .value_kind:     by_value
      - .offset:         8
        .size:           4
        .value_kind:     by_value
      - .offset:         12
        .size:           4
        .value_kind:     by_value
      - .offset:         16
        .size:           8
        .value_kind:     by_value
      - .offset:         24
        .size:           8
        .value_kind:     by_value
      - .offset:         32
        .size:           8
        .value_kind:     by_value
      - .actual_access:  read_only
        .address_space:  global
        .offset:         40
        .size:           8
        .value_kind:     global_buffer
      - .actual_access:  read_only
        .address_space:  global
        .offset:         48
        .size:           8
        .value_kind:     global_buffer
      - .actual_access:  read_only
        .address_space:  global
        .offset:         56
        .size:           8
        .value_kind:     global_buffer
      - .offset:         64
        .size:           4
        .value_kind:     by_value
      - .actual_access:  read_only
        .address_space:  global
        .offset:         72
        .size:           8
        .value_kind:     global_buffer
      - .offset:         80
        .size:           8
        .value_kind:     by_value
      - .offset:         88
        .size:           8
        .value_kind:     by_value
      - .offset:         96
        .size:           8
        .value_kind:     by_value
      - .address_space:  global
        .offset:         104
        .size:           8
        .value_kind:     global_buffer
      - .offset:         112
        .size:           8
        .value_kind:     by_value
      - .offset:         120
        .size:           8
        .value_kind:     by_value
      - .offset:         128
        .size:           4
        .value_kind:     by_value
      - .offset:         132
        .size:           4
        .value_kind:     by_value
      - .offset:         136
        .size:           1
        .value_kind:     by_value
    .group_segment_fixed_size: 12288
    .kernarg_segment_align: 8
    .kernarg_segment_size: 140
    .language:       OpenCL C
    .language_version:
      - 2
      - 0
    .max_flat_workgroup_size: 1024
    .name:           _ZN9rocsparseL31bsrmm_large_blockdim_kernel_extILj32ELj32ELj2EliDF16_DF16_ffEEvb20rocsparse_direction_T3_S2_llNS_24const_host_device_scalarIT7_EEPKT2_PKS2_PKT4_S2_PKT5_llS5_PT6_ll16rocsparse_order_21rocsparse_index_base_b
    .private_segment_fixed_size: 0
    .sgpr_count:     38
    .sgpr_spill_count: 0
    .symbol:         _ZN9rocsparseL31bsrmm_large_blockdim_kernel_extILj32ELj32ELj2EliDF16_DF16_ffEEvb20rocsparse_direction_T3_S2_llNS_24const_host_device_scalarIT7_EEPKT2_PKS2_PKT4_S2_PKT5_llS5_PT6_ll16rocsparse_order_21rocsparse_index_base_b.kd
    .uniform_work_group_size: 1
    .uses_dynamic_stack: false
    .vgpr_count:     26
    .vgpr_spill_count: 0
    .wavefront_size: 32
  - .args:
      - .offset:         0
        .size:           1
        .value_kind:     by_value
      - .offset:         4
        .size:           4
        .value_kind:     by_value
      - .offset:         8
        .size:           8
        .value_kind:     by_value
      - .offset:         16
        .size:           8
        .value_kind:     by_value
      - .offset:         24
        .size:           8
        .value_kind:     by_value
      - .offset:         32
        .size:           8
        .value_kind:     by_value
      - .offset:         40
        .size:           8
        .value_kind:     by_value
      - .actual_access:  read_only
        .address_space:  global
        .offset:         48
        .size:           8
        .value_kind:     global_buffer
      - .actual_access:  read_only
        .address_space:  global
        .offset:         56
        .size:           8
        .value_kind:     global_buffer
      - .actual_access:  read_only
        .address_space:  global
        .offset:         64
        .size:           8
        .value_kind:     global_buffer
      - .offset:         72
        .size:           8
        .value_kind:     by_value
      - .actual_access:  read_only
        .address_space:  global
        .offset:         80
        .size:           8
        .value_kind:     global_buffer
      - .offset:         88
        .size:           8
        .value_kind:     by_value
      - .offset:         96
        .size:           8
        .value_kind:     by_value
      - .offset:         104
        .size:           8
        .value_kind:     by_value
      - .address_space:  global
        .offset:         112
        .size:           8
        .value_kind:     global_buffer
      - .offset:         120
        .size:           8
        .value_kind:     by_value
      - .offset:         128
        .size:           8
        .value_kind:     by_value
      - .offset:         136
        .size:           4
        .value_kind:     by_value
      - .offset:         140
        .size:           4
        .value_kind:     by_value
      - .offset:         144
        .size:           1
        .value_kind:     by_value
    .group_segment_fixed_size: 768
    .kernarg_segment_align: 8
    .kernarg_segment_size: 148
    .language:       OpenCL C
    .language_version:
      - 2
      - 0
    .max_flat_workgroup_size: 64
    .name:           _ZN9rocsparseL31bsrmm_large_blockdim_kernel_extILj8ELj8ELj2EllDF16_DF16_ffEEvb20rocsparse_direction_T3_S2_llNS_24const_host_device_scalarIT7_EEPKT2_PKS2_PKT4_S2_PKT5_llS5_PT6_ll16rocsparse_order_21rocsparse_index_base_b
    .private_segment_fixed_size: 0
    .sgpr_count:     42
    .sgpr_spill_count: 0
    .symbol:         _ZN9rocsparseL31bsrmm_large_blockdim_kernel_extILj8ELj8ELj2EllDF16_DF16_ffEEvb20rocsparse_direction_T3_S2_llNS_24const_host_device_scalarIT7_EEPKT2_PKS2_PKT4_S2_PKT5_llS5_PT6_ll16rocsparse_order_21rocsparse_index_base_b.kd
    .uniform_work_group_size: 1
    .uses_dynamic_stack: false
    .vgpr_count:     30
    .vgpr_spill_count: 0
    .wavefront_size: 32
  - .args:
      - .offset:         0
        .size:           1
        .value_kind:     by_value
      - .offset:         4
        .size:           4
        .value_kind:     by_value
      - .offset:         8
        .size:           8
        .value_kind:     by_value
      - .offset:         16
        .size:           8
        .value_kind:     by_value
      - .offset:         24
        .size:           8
        .value_kind:     by_value
      - .offset:         32
        .size:           8
        .value_kind:     by_value
      - .offset:         40
        .size:           8
        .value_kind:     by_value
      - .actual_access:  read_only
        .address_space:  global
        .offset:         48
        .size:           8
        .value_kind:     global_buffer
      - .actual_access:  read_only
        .address_space:  global
        .offset:         56
        .size:           8
        .value_kind:     global_buffer
      - .actual_access:  read_only
        .address_space:  global
        .offset:         64
        .size:           8
        .value_kind:     global_buffer
      - .offset:         72
        .size:           8
        .value_kind:     by_value
      - .actual_access:  read_only
        .address_space:  global
        .offset:         80
        .size:           8
        .value_kind:     global_buffer
      - .offset:         88
        .size:           8
        .value_kind:     by_value
      - .offset:         96
        .size:           8
        .value_kind:     by_value
      - .offset:         104
        .size:           8
        .value_kind:     by_value
      - .address_space:  global
        .offset:         112
        .size:           8
        .value_kind:     global_buffer
      - .offset:         120
        .size:           8
        .value_kind:     by_value
      - .offset:         128
        .size:           8
        .value_kind:     by_value
      - .offset:         136
        .size:           4
        .value_kind:     by_value
      - .offset:         140
        .size:           4
        .value_kind:     by_value
      - .offset:         144
        .size:           1
        .value_kind:     by_value
    .group_segment_fixed_size: 576
    .kernarg_segment_align: 8
    .kernarg_segment_size: 148
    .language:       OpenCL C
    .language_version:
      - 2
      - 0
    .max_flat_workgroup_size: 64
    .name:           _ZN9rocsparseL31bsrmm_large_blockdim_kernel_extILj4ELj16ELj2EllDF16_DF16_ffEEvb20rocsparse_direction_T3_S2_llNS_24const_host_device_scalarIT7_EEPKT2_PKS2_PKT4_S2_PKT5_llS5_PT6_ll16rocsparse_order_21rocsparse_index_base_b
    .private_segment_fixed_size: 0
    .sgpr_count:     42
    .sgpr_spill_count: 0
    .symbol:         _ZN9rocsparseL31bsrmm_large_blockdim_kernel_extILj4ELj16ELj2EllDF16_DF16_ffEEvb20rocsparse_direction_T3_S2_llNS_24const_host_device_scalarIT7_EEPKT2_PKS2_PKT4_S2_PKT5_llS5_PT6_ll16rocsparse_order_21rocsparse_index_base_b.kd
    .uniform_work_group_size: 1
    .uses_dynamic_stack: false
    .vgpr_count:     30
    .vgpr_spill_count: 0
    .wavefront_size: 32
  - .args:
      - .offset:         0
        .size:           1
        .value_kind:     by_value
      - .offset:         4
        .size:           4
        .value_kind:     by_value
      - .offset:         8
        .size:           8
        .value_kind:     by_value
      - .offset:         16
        .size:           8
        .value_kind:     by_value
      - .offset:         24
        .size:           8
        .value_kind:     by_value
      - .offset:         32
        .size:           8
        .value_kind:     by_value
      - .offset:         40
        .size:           8
        .value_kind:     by_value
      - .actual_access:  read_only
        .address_space:  global
        .offset:         48
        .size:           8
        .value_kind:     global_buffer
      - .actual_access:  read_only
        .address_space:  global
        .offset:         56
        .size:           8
        .value_kind:     global_buffer
      - .actual_access:  read_only
        .address_space:  global
        .offset:         64
        .size:           8
        .value_kind:     global_buffer
      - .offset:         72
        .size:           8
        .value_kind:     by_value
      - .actual_access:  read_only
        .address_space:  global
        .offset:         80
        .size:           8
        .value_kind:     global_buffer
      - .offset:         88
        .size:           8
        .value_kind:     by_value
      - .offset:         96
        .size:           8
        .value_kind:     by_value
      - .offset:         104
        .size:           8
        .value_kind:     by_value
      - .address_space:  global
        .offset:         112
        .size:           8
        .value_kind:     global_buffer
      - .offset:         120
        .size:           8
        .value_kind:     by_value
      - .offset:         128
        .size:           8
        .value_kind:     by_value
      - .offset:         136
        .size:           4
        .value_kind:     by_value
      - .offset:         140
        .size:           4
        .value_kind:     by_value
      - .offset:         144
        .size:           1
        .value_kind:     by_value
    .group_segment_fixed_size: 3072
    .kernarg_segment_align: 8
    .kernarg_segment_size: 148
    .language:       OpenCL C
    .language_version:
      - 2
      - 0
    .max_flat_workgroup_size: 256
    .name:           _ZN9rocsparseL31bsrmm_large_blockdim_kernel_extILj16ELj16ELj2EllDF16_DF16_ffEEvb20rocsparse_direction_T3_S2_llNS_24const_host_device_scalarIT7_EEPKT2_PKS2_PKT4_S2_PKT5_llS5_PT6_ll16rocsparse_order_21rocsparse_index_base_b
    .private_segment_fixed_size: 0
    .sgpr_count:     42
    .sgpr_spill_count: 0
    .symbol:         _ZN9rocsparseL31bsrmm_large_blockdim_kernel_extILj16ELj16ELj2EllDF16_DF16_ffEEvb20rocsparse_direction_T3_S2_llNS_24const_host_device_scalarIT7_EEPKT2_PKS2_PKT4_S2_PKT5_llS5_PT6_ll16rocsparse_order_21rocsparse_index_base_b.kd
    .uniform_work_group_size: 1
    .uses_dynamic_stack: false
    .vgpr_count:     30
    .vgpr_spill_count: 0
    .wavefront_size: 32
  - .args:
      - .offset:         0
        .size:           1
        .value_kind:     by_value
      - .offset:         4
        .size:           4
        .value_kind:     by_value
      - .offset:         8
        .size:           8
        .value_kind:     by_value
      - .offset:         16
        .size:           8
        .value_kind:     by_value
      - .offset:         24
        .size:           8
        .value_kind:     by_value
      - .offset:         32
        .size:           8
        .value_kind:     by_value
      - .offset:         40
        .size:           8
        .value_kind:     by_value
      - .actual_access:  read_only
        .address_space:  global
        .offset:         48
        .size:           8
        .value_kind:     global_buffer
      - .actual_access:  read_only
        .address_space:  global
        .offset:         56
        .size:           8
        .value_kind:     global_buffer
      - .actual_access:  read_only
        .address_space:  global
        .offset:         64
        .size:           8
        .value_kind:     global_buffer
      - .offset:         72
        .size:           8
        .value_kind:     by_value
      - .actual_access:  read_only
        .address_space:  global
        .offset:         80
        .size:           8
        .value_kind:     global_buffer
      - .offset:         88
        .size:           8
        .value_kind:     by_value
      - .offset:         96
        .size:           8
        .value_kind:     by_value
      - .offset:         104
        .size:           8
        .value_kind:     by_value
      - .address_space:  global
        .offset:         112
        .size:           8
        .value_kind:     global_buffer
      - .offset:         120
        .size:           8
        .value_kind:     by_value
      - .offset:         128
        .size:           8
        .value_kind:     by_value
      - .offset:         136
        .size:           4
        .value_kind:     by_value
      - .offset:         140
        .size:           4
        .value_kind:     by_value
      - .offset:         144
        .size:           1
        .value_kind:     by_value
    .group_segment_fixed_size: 12288
    .kernarg_segment_align: 8
    .kernarg_segment_size: 148
    .language:       OpenCL C
    .language_version:
      - 2
      - 0
    .max_flat_workgroup_size: 1024
    .name:           _ZN9rocsparseL31bsrmm_large_blockdim_kernel_extILj32ELj32ELj2EllDF16_DF16_ffEEvb20rocsparse_direction_T3_S2_llNS_24const_host_device_scalarIT7_EEPKT2_PKS2_PKT4_S2_PKT5_llS5_PT6_ll16rocsparse_order_21rocsparse_index_base_b
    .private_segment_fixed_size: 0
    .sgpr_count:     42
    .sgpr_spill_count: 0
    .symbol:         _ZN9rocsparseL31bsrmm_large_blockdim_kernel_extILj32ELj32ELj2EllDF16_DF16_ffEEvb20rocsparse_direction_T3_S2_llNS_24const_host_device_scalarIT7_EEPKT2_PKS2_PKT4_S2_PKT5_llS5_PT6_ll16rocsparse_order_21rocsparse_index_base_b.kd
    .uniform_work_group_size: 1
    .uses_dynamic_stack: false
    .vgpr_count:     30
    .vgpr_spill_count: 0
    .wavefront_size: 32
  - .args:
      - .offset:         0
        .size:           1
        .value_kind:     by_value
      - .offset:         4
        .size:           4
        .value_kind:     by_value
      - .offset:         8
        .size:           4
        .value_kind:     by_value
      - .offset:         12
        .size:           4
        .value_kind:     by_value
      - .offset:         16
        .size:           8
        .value_kind:     by_value
      - .offset:         24
        .size:           8
        .value_kind:     by_value
      - .offset:         32
        .size:           8
        .value_kind:     by_value
      - .actual_access:  read_only
        .address_space:  global
        .offset:         40
        .size:           8
        .value_kind:     global_buffer
      - .actual_access:  read_only
        .address_space:  global
        .offset:         48
        .size:           8
        .value_kind:     global_buffer
      - .actual_access:  read_only
        .address_space:  global
        .offset:         56
        .size:           8
        .value_kind:     global_buffer
      - .offset:         64
        .size:           4
        .value_kind:     by_value
      - .actual_access:  read_only
        .address_space:  global
        .offset:         72
        .size:           8
        .value_kind:     global_buffer
      - .offset:         80
        .size:           8
        .value_kind:     by_value
      - .offset:         88
        .size:           8
        .value_kind:     by_value
      - .offset:         96
        .size:           8
        .value_kind:     by_value
      - .address_space:  global
        .offset:         104
        .size:           8
        .value_kind:     global_buffer
      - .offset:         112
        .size:           8
        .value_kind:     by_value
      - .offset:         120
        .size:           8
        .value_kind:     by_value
      - .offset:         128
        .size:           4
        .value_kind:     by_value
      - .offset:         132
        .size:           4
        .value_kind:     by_value
      - .offset:         136
        .size:           1
        .value_kind:     by_value
    .group_segment_fixed_size: 768
    .kernarg_segment_align: 8
    .kernarg_segment_size: 140
    .language:       OpenCL C
    .language_version:
      - 2
      - 0
    .max_flat_workgroup_size: 64
    .name:           _ZN9rocsparseL31bsrmm_large_blockdim_kernel_extILj8ELj8ELj2EiiaaiiEEvb20rocsparse_direction_T3_S2_llNS_24const_host_device_scalarIT7_EEPKT2_PKS2_PKT4_S2_PKT5_llS5_PT6_ll16rocsparse_order_21rocsparse_index_base_b
    .private_segment_fixed_size: 0
    .sgpr_count:     32
    .sgpr_spill_count: 0
    .symbol:         _ZN9rocsparseL31bsrmm_large_blockdim_kernel_extILj8ELj8ELj2EiiaaiiEEvb20rocsparse_direction_T3_S2_llNS_24const_host_device_scalarIT7_EEPKT2_PKS2_PKT4_S2_PKT5_llS5_PT6_ll16rocsparse_order_21rocsparse_index_base_b.kd
    .uniform_work_group_size: 1
    .uses_dynamic_stack: false
    .vgpr_count:     26
    .vgpr_spill_count: 0
    .wavefront_size: 32
  - .args:
      - .offset:         0
        .size:           1
        .value_kind:     by_value
      - .offset:         4
        .size:           4
        .value_kind:     by_value
      - .offset:         8
        .size:           4
        .value_kind:     by_value
      - .offset:         12
        .size:           4
        .value_kind:     by_value
      - .offset:         16
        .size:           8
        .value_kind:     by_value
      - .offset:         24
        .size:           8
        .value_kind:     by_value
      - .offset:         32
        .size:           8
        .value_kind:     by_value
      - .actual_access:  read_only
        .address_space:  global
        .offset:         40
        .size:           8
        .value_kind:     global_buffer
      - .actual_access:  read_only
        .address_space:  global
        .offset:         48
        .size:           8
        .value_kind:     global_buffer
      - .actual_access:  read_only
        .address_space:  global
        .offset:         56
        .size:           8
        .value_kind:     global_buffer
      - .offset:         64
        .size:           4
        .value_kind:     by_value
      - .actual_access:  read_only
        .address_space:  global
        .offset:         72
        .size:           8
        .value_kind:     global_buffer
      - .offset:         80
        .size:           8
        .value_kind:     by_value
      - .offset:         88
        .size:           8
        .value_kind:     by_value
      - .offset:         96
        .size:           8
        .value_kind:     by_value
      - .address_space:  global
        .offset:         104
        .size:           8
        .value_kind:     global_buffer
      - .offset:         112
        .size:           8
        .value_kind:     by_value
      - .offset:         120
        .size:           8
        .value_kind:     by_value
      - .offset:         128
        .size:           4
        .value_kind:     by_value
      - .offset:         132
        .size:           4
        .value_kind:     by_value
      - .offset:         136
        .size:           1
        .value_kind:     by_value
    .group_segment_fixed_size: 576
    .kernarg_segment_align: 8
    .kernarg_segment_size: 140
    .language:       OpenCL C
    .language_version:
      - 2
      - 0
    .max_flat_workgroup_size: 64
    .name:           _ZN9rocsparseL31bsrmm_large_blockdim_kernel_extILj4ELj16ELj2EiiaaiiEEvb20rocsparse_direction_T3_S2_llNS_24const_host_device_scalarIT7_EEPKT2_PKS2_PKT4_S2_PKT5_llS5_PT6_ll16rocsparse_order_21rocsparse_index_base_b
    .private_segment_fixed_size: 0
    .sgpr_count:     32
    .sgpr_spill_count: 0
    .symbol:         _ZN9rocsparseL31bsrmm_large_blockdim_kernel_extILj4ELj16ELj2EiiaaiiEEvb20rocsparse_direction_T3_S2_llNS_24const_host_device_scalarIT7_EEPKT2_PKS2_PKT4_S2_PKT5_llS5_PT6_ll16rocsparse_order_21rocsparse_index_base_b.kd
    .uniform_work_group_size: 1
    .uses_dynamic_stack: false
    .vgpr_count:     26
    .vgpr_spill_count: 0
    .wavefront_size: 32
  - .args:
      - .offset:         0
        .size:           1
        .value_kind:     by_value
      - .offset:         4
        .size:           4
        .value_kind:     by_value
      - .offset:         8
        .size:           4
        .value_kind:     by_value
      - .offset:         12
        .size:           4
        .value_kind:     by_value
      - .offset:         16
        .size:           8
        .value_kind:     by_value
      - .offset:         24
        .size:           8
        .value_kind:     by_value
      - .offset:         32
        .size:           8
        .value_kind:     by_value
      - .actual_access:  read_only
        .address_space:  global
        .offset:         40
        .size:           8
        .value_kind:     global_buffer
      - .actual_access:  read_only
        .address_space:  global
        .offset:         48
        .size:           8
        .value_kind:     global_buffer
      - .actual_access:  read_only
        .address_space:  global
        .offset:         56
        .size:           8
        .value_kind:     global_buffer
      - .offset:         64
        .size:           4
        .value_kind:     by_value
      - .actual_access:  read_only
        .address_space:  global
        .offset:         72
        .size:           8
        .value_kind:     global_buffer
      - .offset:         80
        .size:           8
        .value_kind:     by_value
      - .offset:         88
        .size:           8
        .value_kind:     by_value
      - .offset:         96
        .size:           8
        .value_kind:     by_value
      - .address_space:  global
        .offset:         104
        .size:           8
        .value_kind:     global_buffer
      - .offset:         112
        .size:           8
        .value_kind:     by_value
      - .offset:         120
        .size:           8
        .value_kind:     by_value
      - .offset:         128
        .size:           4
        .value_kind:     by_value
      - .offset:         132
        .size:           4
        .value_kind:     by_value
      - .offset:         136
        .size:           1
        .value_kind:     by_value
    .group_segment_fixed_size: 3072
    .kernarg_segment_align: 8
    .kernarg_segment_size: 140
    .language:       OpenCL C
    .language_version:
      - 2
      - 0
    .max_flat_workgroup_size: 256
    .name:           _ZN9rocsparseL31bsrmm_large_blockdim_kernel_extILj16ELj16ELj2EiiaaiiEEvb20rocsparse_direction_T3_S2_llNS_24const_host_device_scalarIT7_EEPKT2_PKS2_PKT4_S2_PKT5_llS5_PT6_ll16rocsparse_order_21rocsparse_index_base_b
    .private_segment_fixed_size: 0
    .sgpr_count:     32
    .sgpr_spill_count: 0
    .symbol:         _ZN9rocsparseL31bsrmm_large_blockdim_kernel_extILj16ELj16ELj2EiiaaiiEEvb20rocsparse_direction_T3_S2_llNS_24const_host_device_scalarIT7_EEPKT2_PKS2_PKT4_S2_PKT5_llS5_PT6_ll16rocsparse_order_21rocsparse_index_base_b.kd
    .uniform_work_group_size: 1
    .uses_dynamic_stack: false
    .vgpr_count:     26
    .vgpr_spill_count: 0
    .wavefront_size: 32
  - .args:
      - .offset:         0
        .size:           1
        .value_kind:     by_value
      - .offset:         4
        .size:           4
        .value_kind:     by_value
      - .offset:         8
        .size:           4
        .value_kind:     by_value
      - .offset:         12
        .size:           4
        .value_kind:     by_value
      - .offset:         16
        .size:           8
        .value_kind:     by_value
      - .offset:         24
        .size:           8
        .value_kind:     by_value
      - .offset:         32
        .size:           8
        .value_kind:     by_value
      - .actual_access:  read_only
        .address_space:  global
        .offset:         40
        .size:           8
        .value_kind:     global_buffer
      - .actual_access:  read_only
        .address_space:  global
        .offset:         48
        .size:           8
        .value_kind:     global_buffer
      - .actual_access:  read_only
        .address_space:  global
        .offset:         56
        .size:           8
        .value_kind:     global_buffer
      - .offset:         64
        .size:           4
        .value_kind:     by_value
      - .actual_access:  read_only
        .address_space:  global
        .offset:         72
        .size:           8
        .value_kind:     global_buffer
      - .offset:         80
        .size:           8
        .value_kind:     by_value
      - .offset:         88
        .size:           8
        .value_kind:     by_value
      - .offset:         96
        .size:           8
        .value_kind:     by_value
      - .address_space:  global
        .offset:         104
        .size:           8
        .value_kind:     global_buffer
      - .offset:         112
        .size:           8
        .value_kind:     by_value
      - .offset:         120
        .size:           8
        .value_kind:     by_value
      - .offset:         128
        .size:           4
        .value_kind:     by_value
      - .offset:         132
        .size:           4
        .value_kind:     by_value
      - .offset:         136
        .size:           1
        .value_kind:     by_value
    .group_segment_fixed_size: 12288
    .kernarg_segment_align: 8
    .kernarg_segment_size: 140
    .language:       OpenCL C
    .language_version:
      - 2
      - 0
    .max_flat_workgroup_size: 1024
    .name:           _ZN9rocsparseL31bsrmm_large_blockdim_kernel_extILj32ELj32ELj2EiiaaiiEEvb20rocsparse_direction_T3_S2_llNS_24const_host_device_scalarIT7_EEPKT2_PKS2_PKT4_S2_PKT5_llS5_PT6_ll16rocsparse_order_21rocsparse_index_base_b
    .private_segment_fixed_size: 0
    .sgpr_count:     32
    .sgpr_spill_count: 0
    .symbol:         _ZN9rocsparseL31bsrmm_large_blockdim_kernel_extILj32ELj32ELj2EiiaaiiEEvb20rocsparse_direction_T3_S2_llNS_24const_host_device_scalarIT7_EEPKT2_PKS2_PKT4_S2_PKT5_llS5_PT6_ll16rocsparse_order_21rocsparse_index_base_b.kd
    .uniform_work_group_size: 1
    .uses_dynamic_stack: false
    .vgpr_count:     26
    .vgpr_spill_count: 0
    .wavefront_size: 32
  - .args:
      - .offset:         0
        .size:           1
        .value_kind:     by_value
      - .offset:         4
        .size:           4
        .value_kind:     by_value
      - .offset:         8
        .size:           4
        .value_kind:     by_value
      - .offset:         12
        .size:           4
        .value_kind:     by_value
      - .offset:         16
        .size:           8
        .value_kind:     by_value
      - .offset:         24
        .size:           8
        .value_kind:     by_value
      - .offset:         32
        .size:           8
        .value_kind:     by_value
      - .actual_access:  read_only
        .address_space:  global
        .offset:         40
        .size:           8
        .value_kind:     global_buffer
      - .actual_access:  read_only
        .address_space:  global
        .offset:         48
        .size:           8
        .value_kind:     global_buffer
      - .actual_access:  read_only
        .address_space:  global
        .offset:         56
        .size:           8
        .value_kind:     global_buffer
      - .offset:         64
        .size:           4
        .value_kind:     by_value
      - .actual_access:  read_only
        .address_space:  global
        .offset:         72
        .size:           8
        .value_kind:     global_buffer
      - .offset:         80
        .size:           8
        .value_kind:     by_value
      - .offset:         88
        .size:           8
        .value_kind:     by_value
      - .offset:         96
        .size:           8
        .value_kind:     by_value
      - .address_space:  global
        .offset:         104
        .size:           8
        .value_kind:     global_buffer
      - .offset:         112
        .size:           8
        .value_kind:     by_value
      - .offset:         120
        .size:           8
        .value_kind:     by_value
      - .offset:         128
        .size:           4
        .value_kind:     by_value
      - .offset:         132
        .size:           4
        .value_kind:     by_value
      - .offset:         136
        .size:           1
        .value_kind:     by_value
    .group_segment_fixed_size: 768
    .kernarg_segment_align: 8
    .kernarg_segment_size: 140
    .language:       OpenCL C
    .language_version:
      - 2
      - 0
    .max_flat_workgroup_size: 64
    .name:           _ZN9rocsparseL31bsrmm_large_blockdim_kernel_extILj8ELj8ELj2EliaaiiEEvb20rocsparse_direction_T3_S2_llNS_24const_host_device_scalarIT7_EEPKT2_PKS2_PKT4_S2_PKT5_llS5_PT6_ll16rocsparse_order_21rocsparse_index_base_b
    .private_segment_fixed_size: 0
    .sgpr_count:     31
    .sgpr_spill_count: 0
    .symbol:         _ZN9rocsparseL31bsrmm_large_blockdim_kernel_extILj8ELj8ELj2EliaaiiEEvb20rocsparse_direction_T3_S2_llNS_24const_host_device_scalarIT7_EEPKT2_PKS2_PKT4_S2_PKT5_llS5_PT6_ll16rocsparse_order_21rocsparse_index_base_b.kd
    .uniform_work_group_size: 1
    .uses_dynamic_stack: false
    .vgpr_count:     26
    .vgpr_spill_count: 0
    .wavefront_size: 32
  - .args:
      - .offset:         0
        .size:           1
        .value_kind:     by_value
      - .offset:         4
        .size:           4
        .value_kind:     by_value
      - .offset:         8
        .size:           4
        .value_kind:     by_value
      - .offset:         12
        .size:           4
        .value_kind:     by_value
      - .offset:         16
        .size:           8
        .value_kind:     by_value
      - .offset:         24
        .size:           8
        .value_kind:     by_value
      - .offset:         32
        .size:           8
        .value_kind:     by_value
      - .actual_access:  read_only
        .address_space:  global
        .offset:         40
        .size:           8
        .value_kind:     global_buffer
      - .actual_access:  read_only
        .address_space:  global
        .offset:         48
        .size:           8
        .value_kind:     global_buffer
      - .actual_access:  read_only
        .address_space:  global
        .offset:         56
        .size:           8
        .value_kind:     global_buffer
      - .offset:         64
        .size:           4
        .value_kind:     by_value
      - .actual_access:  read_only
        .address_space:  global
        .offset:         72
        .size:           8
        .value_kind:     global_buffer
      - .offset:         80
        .size:           8
        .value_kind:     by_value
      - .offset:         88
        .size:           8
        .value_kind:     by_value
      - .offset:         96
        .size:           8
        .value_kind:     by_value
      - .address_space:  global
        .offset:         104
        .size:           8
        .value_kind:     global_buffer
      - .offset:         112
        .size:           8
        .value_kind:     by_value
      - .offset:         120
        .size:           8
        .value_kind:     by_value
      - .offset:         128
        .size:           4
        .value_kind:     by_value
      - .offset:         132
        .size:           4
        .value_kind:     by_value
      - .offset:         136
        .size:           1
        .value_kind:     by_value
    .group_segment_fixed_size: 576
    .kernarg_segment_align: 8
    .kernarg_segment_size: 140
    .language:       OpenCL C
    .language_version:
      - 2
      - 0
    .max_flat_workgroup_size: 64
    .name:           _ZN9rocsparseL31bsrmm_large_blockdim_kernel_extILj4ELj16ELj2EliaaiiEEvb20rocsparse_direction_T3_S2_llNS_24const_host_device_scalarIT7_EEPKT2_PKS2_PKT4_S2_PKT5_llS5_PT6_ll16rocsparse_order_21rocsparse_index_base_b
    .private_segment_fixed_size: 0
    .sgpr_count:     31
    .sgpr_spill_count: 0
    .symbol:         _ZN9rocsparseL31bsrmm_large_blockdim_kernel_extILj4ELj16ELj2EliaaiiEEvb20rocsparse_direction_T3_S2_llNS_24const_host_device_scalarIT7_EEPKT2_PKS2_PKT4_S2_PKT5_llS5_PT6_ll16rocsparse_order_21rocsparse_index_base_b.kd
    .uniform_work_group_size: 1
    .uses_dynamic_stack: false
    .vgpr_count:     26
    .vgpr_spill_count: 0
    .wavefront_size: 32
  - .args:
      - .offset:         0
        .size:           1
        .value_kind:     by_value
      - .offset:         4
        .size:           4
        .value_kind:     by_value
      - .offset:         8
        .size:           4
        .value_kind:     by_value
      - .offset:         12
        .size:           4
        .value_kind:     by_value
      - .offset:         16
        .size:           8
        .value_kind:     by_value
      - .offset:         24
        .size:           8
        .value_kind:     by_value
      - .offset:         32
        .size:           8
        .value_kind:     by_value
      - .actual_access:  read_only
        .address_space:  global
        .offset:         40
        .size:           8
        .value_kind:     global_buffer
      - .actual_access:  read_only
        .address_space:  global
        .offset:         48
        .size:           8
        .value_kind:     global_buffer
      - .actual_access:  read_only
        .address_space:  global
        .offset:         56
        .size:           8
        .value_kind:     global_buffer
      - .offset:         64
        .size:           4
        .value_kind:     by_value
      - .actual_access:  read_only
        .address_space:  global
        .offset:         72
        .size:           8
        .value_kind:     global_buffer
      - .offset:         80
        .size:           8
        .value_kind:     by_value
      - .offset:         88
        .size:           8
        .value_kind:     by_value
      - .offset:         96
        .size:           8
        .value_kind:     by_value
      - .address_space:  global
        .offset:         104
        .size:           8
        .value_kind:     global_buffer
      - .offset:         112
        .size:           8
        .value_kind:     by_value
      - .offset:         120
        .size:           8
        .value_kind:     by_value
      - .offset:         128
        .size:           4
        .value_kind:     by_value
      - .offset:         132
        .size:           4
        .value_kind:     by_value
      - .offset:         136
        .size:           1
        .value_kind:     by_value
    .group_segment_fixed_size: 3072
    .kernarg_segment_align: 8
    .kernarg_segment_size: 140
    .language:       OpenCL C
    .language_version:
      - 2
      - 0
    .max_flat_workgroup_size: 256
    .name:           _ZN9rocsparseL31bsrmm_large_blockdim_kernel_extILj16ELj16ELj2EliaaiiEEvb20rocsparse_direction_T3_S2_llNS_24const_host_device_scalarIT7_EEPKT2_PKS2_PKT4_S2_PKT5_llS5_PT6_ll16rocsparse_order_21rocsparse_index_base_b
    .private_segment_fixed_size: 0
    .sgpr_count:     31
    .sgpr_spill_count: 0
    .symbol:         _ZN9rocsparseL31bsrmm_large_blockdim_kernel_extILj16ELj16ELj2EliaaiiEEvb20rocsparse_direction_T3_S2_llNS_24const_host_device_scalarIT7_EEPKT2_PKS2_PKT4_S2_PKT5_llS5_PT6_ll16rocsparse_order_21rocsparse_index_base_b.kd
    .uniform_work_group_size: 1
    .uses_dynamic_stack: false
    .vgpr_count:     26
    .vgpr_spill_count: 0
    .wavefront_size: 32
  - .args:
      - .offset:         0
        .size:           1
        .value_kind:     by_value
      - .offset:         4
        .size:           4
        .value_kind:     by_value
      - .offset:         8
        .size:           4
        .value_kind:     by_value
      - .offset:         12
        .size:           4
        .value_kind:     by_value
      - .offset:         16
        .size:           8
        .value_kind:     by_value
      - .offset:         24
        .size:           8
        .value_kind:     by_value
      - .offset:         32
        .size:           8
        .value_kind:     by_value
      - .actual_access:  read_only
        .address_space:  global
        .offset:         40
        .size:           8
        .value_kind:     global_buffer
      - .actual_access:  read_only
        .address_space:  global
        .offset:         48
        .size:           8
        .value_kind:     global_buffer
      - .actual_access:  read_only
        .address_space:  global
        .offset:         56
        .size:           8
        .value_kind:     global_buffer
      - .offset:         64
        .size:           4
        .value_kind:     by_value
      - .actual_access:  read_only
        .address_space:  global
        .offset:         72
        .size:           8
        .value_kind:     global_buffer
      - .offset:         80
        .size:           8
        .value_kind:     by_value
      - .offset:         88
        .size:           8
        .value_kind:     by_value
      - .offset:         96
        .size:           8
        .value_kind:     by_value
      - .address_space:  global
        .offset:         104
        .size:           8
        .value_kind:     global_buffer
      - .offset:         112
        .size:           8
        .value_kind:     by_value
      - .offset:         120
        .size:           8
        .value_kind:     by_value
      - .offset:         128
        .size:           4
        .value_kind:     by_value
      - .offset:         132
        .size:           4
        .value_kind:     by_value
      - .offset:         136
        .size:           1
        .value_kind:     by_value
    .group_segment_fixed_size: 12288
    .kernarg_segment_align: 8
    .kernarg_segment_size: 140
    .language:       OpenCL C
    .language_version:
      - 2
      - 0
    .max_flat_workgroup_size: 1024
    .name:           _ZN9rocsparseL31bsrmm_large_blockdim_kernel_extILj32ELj32ELj2EliaaiiEEvb20rocsparse_direction_T3_S2_llNS_24const_host_device_scalarIT7_EEPKT2_PKS2_PKT4_S2_PKT5_llS5_PT6_ll16rocsparse_order_21rocsparse_index_base_b
    .private_segment_fixed_size: 0
    .sgpr_count:     31
    .sgpr_spill_count: 0
    .symbol:         _ZN9rocsparseL31bsrmm_large_blockdim_kernel_extILj32ELj32ELj2EliaaiiEEvb20rocsparse_direction_T3_S2_llNS_24const_host_device_scalarIT7_EEPKT2_PKS2_PKT4_S2_PKT5_llS5_PT6_ll16rocsparse_order_21rocsparse_index_base_b.kd
    .uniform_work_group_size: 1
    .uses_dynamic_stack: false
    .vgpr_count:     26
    .vgpr_spill_count: 0
    .wavefront_size: 32
  - .args:
      - .offset:         0
        .size:           1
        .value_kind:     by_value
      - .offset:         4
        .size:           4
        .value_kind:     by_value
      - .offset:         8
        .size:           8
        .value_kind:     by_value
      - .offset:         16
        .size:           8
        .value_kind:     by_value
      - .offset:         24
        .size:           8
        .value_kind:     by_value
      - .offset:         32
        .size:           8
        .value_kind:     by_value
      - .offset:         40
        .size:           8
        .value_kind:     by_value
      - .actual_access:  read_only
        .address_space:  global
        .offset:         48
        .size:           8
        .value_kind:     global_buffer
      - .actual_access:  read_only
        .address_space:  global
        .offset:         56
        .size:           8
        .value_kind:     global_buffer
      - .actual_access:  read_only
        .address_space:  global
        .offset:         64
        .size:           8
        .value_kind:     global_buffer
      - .offset:         72
        .size:           8
        .value_kind:     by_value
      - .actual_access:  read_only
        .address_space:  global
        .offset:         80
        .size:           8
        .value_kind:     global_buffer
      - .offset:         88
        .size:           8
        .value_kind:     by_value
      - .offset:         96
        .size:           8
        .value_kind:     by_value
      - .offset:         104
        .size:           8
        .value_kind:     by_value
      - .address_space:  global
        .offset:         112
        .size:           8
        .value_kind:     global_buffer
      - .offset:         120
        .size:           8
        .value_kind:     by_value
      - .offset:         128
        .size:           8
        .value_kind:     by_value
      - .offset:         136
        .size:           4
        .value_kind:     by_value
      - .offset:         140
        .size:           4
        .value_kind:     by_value
      - .offset:         144
        .size:           1
        .value_kind:     by_value
    .group_segment_fixed_size: 768
    .kernarg_segment_align: 8
    .kernarg_segment_size: 148
    .language:       OpenCL C
    .language_version:
      - 2
      - 0
    .max_flat_workgroup_size: 64
    .name:           _ZN9rocsparseL31bsrmm_large_blockdim_kernel_extILj8ELj8ELj2EllaaiiEEvb20rocsparse_direction_T3_S2_llNS_24const_host_device_scalarIT7_EEPKT2_PKS2_PKT4_S2_PKT5_llS5_PT6_ll16rocsparse_order_21rocsparse_index_base_b
    .private_segment_fixed_size: 0
    .sgpr_count:     42
    .sgpr_spill_count: 0
    .symbol:         _ZN9rocsparseL31bsrmm_large_blockdim_kernel_extILj8ELj8ELj2EllaaiiEEvb20rocsparse_direction_T3_S2_llNS_24const_host_device_scalarIT7_EEPKT2_PKS2_PKT4_S2_PKT5_llS5_PT6_ll16rocsparse_order_21rocsparse_index_base_b.kd
    .uniform_work_group_size: 1
    .uses_dynamic_stack: false
    .vgpr_count:     30
    .vgpr_spill_count: 0
    .wavefront_size: 32
  - .args:
      - .offset:         0
        .size:           1
        .value_kind:     by_value
      - .offset:         4
        .size:           4
        .value_kind:     by_value
      - .offset:         8
        .size:           8
        .value_kind:     by_value
      - .offset:         16
        .size:           8
        .value_kind:     by_value
      - .offset:         24
        .size:           8
        .value_kind:     by_value
      - .offset:         32
        .size:           8
        .value_kind:     by_value
      - .offset:         40
        .size:           8
        .value_kind:     by_value
      - .actual_access:  read_only
        .address_space:  global
        .offset:         48
        .size:           8
        .value_kind:     global_buffer
      - .actual_access:  read_only
        .address_space:  global
        .offset:         56
        .size:           8
        .value_kind:     global_buffer
      - .actual_access:  read_only
        .address_space:  global
        .offset:         64
        .size:           8
        .value_kind:     global_buffer
      - .offset:         72
        .size:           8
        .value_kind:     by_value
      - .actual_access:  read_only
        .address_space:  global
        .offset:         80
        .size:           8
        .value_kind:     global_buffer
      - .offset:         88
        .size:           8
        .value_kind:     by_value
      - .offset:         96
        .size:           8
        .value_kind:     by_value
      - .offset:         104
        .size:           8
        .value_kind:     by_value
      - .address_space:  global
        .offset:         112
        .size:           8
        .value_kind:     global_buffer
      - .offset:         120
        .size:           8
        .value_kind:     by_value
      - .offset:         128
        .size:           8
        .value_kind:     by_value
      - .offset:         136
        .size:           4
        .value_kind:     by_value
      - .offset:         140
        .size:           4
        .value_kind:     by_value
      - .offset:         144
        .size:           1
        .value_kind:     by_value
    .group_segment_fixed_size: 576
    .kernarg_segment_align: 8
    .kernarg_segment_size: 148
    .language:       OpenCL C
    .language_version:
      - 2
      - 0
    .max_flat_workgroup_size: 64
    .name:           _ZN9rocsparseL31bsrmm_large_blockdim_kernel_extILj4ELj16ELj2EllaaiiEEvb20rocsparse_direction_T3_S2_llNS_24const_host_device_scalarIT7_EEPKT2_PKS2_PKT4_S2_PKT5_llS5_PT6_ll16rocsparse_order_21rocsparse_index_base_b
    .private_segment_fixed_size: 0
    .sgpr_count:     42
    .sgpr_spill_count: 0
    .symbol:         _ZN9rocsparseL31bsrmm_large_blockdim_kernel_extILj4ELj16ELj2EllaaiiEEvb20rocsparse_direction_T3_S2_llNS_24const_host_device_scalarIT7_EEPKT2_PKS2_PKT4_S2_PKT5_llS5_PT6_ll16rocsparse_order_21rocsparse_index_base_b.kd
    .uniform_work_group_size: 1
    .uses_dynamic_stack: false
    .vgpr_count:     30
    .vgpr_spill_count: 0
    .wavefront_size: 32
  - .args:
      - .offset:         0
        .size:           1
        .value_kind:     by_value
      - .offset:         4
        .size:           4
        .value_kind:     by_value
      - .offset:         8
        .size:           8
        .value_kind:     by_value
      - .offset:         16
        .size:           8
        .value_kind:     by_value
      - .offset:         24
        .size:           8
        .value_kind:     by_value
      - .offset:         32
        .size:           8
        .value_kind:     by_value
      - .offset:         40
        .size:           8
        .value_kind:     by_value
      - .actual_access:  read_only
        .address_space:  global
        .offset:         48
        .size:           8
        .value_kind:     global_buffer
      - .actual_access:  read_only
        .address_space:  global
        .offset:         56
        .size:           8
        .value_kind:     global_buffer
      - .actual_access:  read_only
        .address_space:  global
        .offset:         64
        .size:           8
        .value_kind:     global_buffer
      - .offset:         72
        .size:           8
        .value_kind:     by_value
      - .actual_access:  read_only
        .address_space:  global
        .offset:         80
        .size:           8
        .value_kind:     global_buffer
      - .offset:         88
        .size:           8
        .value_kind:     by_value
      - .offset:         96
        .size:           8
        .value_kind:     by_value
      - .offset:         104
        .size:           8
        .value_kind:     by_value
      - .address_space:  global
        .offset:         112
        .size:           8
        .value_kind:     global_buffer
      - .offset:         120
        .size:           8
        .value_kind:     by_value
      - .offset:         128
        .size:           8
        .value_kind:     by_value
      - .offset:         136
        .size:           4
        .value_kind:     by_value
      - .offset:         140
        .size:           4
        .value_kind:     by_value
      - .offset:         144
        .size:           1
        .value_kind:     by_value
    .group_segment_fixed_size: 3072
    .kernarg_segment_align: 8
    .kernarg_segment_size: 148
    .language:       OpenCL C
    .language_version:
      - 2
      - 0
    .max_flat_workgroup_size: 256
    .name:           _ZN9rocsparseL31bsrmm_large_blockdim_kernel_extILj16ELj16ELj2EllaaiiEEvb20rocsparse_direction_T3_S2_llNS_24const_host_device_scalarIT7_EEPKT2_PKS2_PKT4_S2_PKT5_llS5_PT6_ll16rocsparse_order_21rocsparse_index_base_b
    .private_segment_fixed_size: 0
    .sgpr_count:     42
    .sgpr_spill_count: 0
    .symbol:         _ZN9rocsparseL31bsrmm_large_blockdim_kernel_extILj16ELj16ELj2EllaaiiEEvb20rocsparse_direction_T3_S2_llNS_24const_host_device_scalarIT7_EEPKT2_PKS2_PKT4_S2_PKT5_llS5_PT6_ll16rocsparse_order_21rocsparse_index_base_b.kd
    .uniform_work_group_size: 1
    .uses_dynamic_stack: false
    .vgpr_count:     30
    .vgpr_spill_count: 0
    .wavefront_size: 32
  - .args:
      - .offset:         0
        .size:           1
        .value_kind:     by_value
      - .offset:         4
        .size:           4
        .value_kind:     by_value
      - .offset:         8
        .size:           8
        .value_kind:     by_value
      - .offset:         16
        .size:           8
        .value_kind:     by_value
      - .offset:         24
        .size:           8
        .value_kind:     by_value
      - .offset:         32
        .size:           8
        .value_kind:     by_value
      - .offset:         40
        .size:           8
        .value_kind:     by_value
      - .actual_access:  read_only
        .address_space:  global
        .offset:         48
        .size:           8
        .value_kind:     global_buffer
      - .actual_access:  read_only
        .address_space:  global
        .offset:         56
        .size:           8
        .value_kind:     global_buffer
      - .actual_access:  read_only
        .address_space:  global
        .offset:         64
        .size:           8
        .value_kind:     global_buffer
      - .offset:         72
        .size:           8
        .value_kind:     by_value
      - .actual_access:  read_only
        .address_space:  global
        .offset:         80
        .size:           8
        .value_kind:     global_buffer
      - .offset:         88
        .size:           8
        .value_kind:     by_value
      - .offset:         96
        .size:           8
        .value_kind:     by_value
      - .offset:         104
        .size:           8
        .value_kind:     by_value
      - .address_space:  global
        .offset:         112
        .size:           8
        .value_kind:     global_buffer
      - .offset:         120
        .size:           8
        .value_kind:     by_value
      - .offset:         128
        .size:           8
        .value_kind:     by_value
      - .offset:         136
        .size:           4
        .value_kind:     by_value
      - .offset:         140
        .size:           4
        .value_kind:     by_value
      - .offset:         144
        .size:           1
        .value_kind:     by_value
    .group_segment_fixed_size: 12288
    .kernarg_segment_align: 8
    .kernarg_segment_size: 148
    .language:       OpenCL C
    .language_version:
      - 2
      - 0
    .max_flat_workgroup_size: 1024
    .name:           _ZN9rocsparseL31bsrmm_large_blockdim_kernel_extILj32ELj32ELj2EllaaiiEEvb20rocsparse_direction_T3_S2_llNS_24const_host_device_scalarIT7_EEPKT2_PKS2_PKT4_S2_PKT5_llS5_PT6_ll16rocsparse_order_21rocsparse_index_base_b
    .private_segment_fixed_size: 0
    .sgpr_count:     42
    .sgpr_spill_count: 0
    .symbol:         _ZN9rocsparseL31bsrmm_large_blockdim_kernel_extILj32ELj32ELj2EllaaiiEEvb20rocsparse_direction_T3_S2_llNS_24const_host_device_scalarIT7_EEPKT2_PKS2_PKT4_S2_PKT5_llS5_PT6_ll16rocsparse_order_21rocsparse_index_base_b.kd
    .uniform_work_group_size: 1
    .uses_dynamic_stack: false
    .vgpr_count:     30
    .vgpr_spill_count: 0
    .wavefront_size: 32
  - .args:
      - .offset:         0
        .size:           1
        .value_kind:     by_value
      - .offset:         4
        .size:           4
        .value_kind:     by_value
      - .offset:         8
        .size:           4
        .value_kind:     by_value
      - .offset:         12
        .size:           4
        .value_kind:     by_value
      - .offset:         16
        .size:           8
        .value_kind:     by_value
      - .offset:         24
        .size:           8
        .value_kind:     by_value
      - .offset:         32
        .size:           8
        .value_kind:     by_value
      - .actual_access:  read_only
        .address_space:  global
        .offset:         40
        .size:           8
        .value_kind:     global_buffer
      - .actual_access:  read_only
        .address_space:  global
        .offset:         48
        .size:           8
        .value_kind:     global_buffer
      - .actual_access:  read_only
        .address_space:  global
        .offset:         56
        .size:           8
        .value_kind:     global_buffer
      - .offset:         64
        .size:           4
        .value_kind:     by_value
      - .actual_access:  read_only
        .address_space:  global
        .offset:         72
        .size:           8
        .value_kind:     global_buffer
      - .offset:         80
        .size:           8
        .value_kind:     by_value
      - .offset:         88
        .size:           8
        .value_kind:     by_value
      - .offset:         96
        .size:           8
        .value_kind:     by_value
      - .address_space:  global
        .offset:         104
        .size:           8
        .value_kind:     global_buffer
      - .offset:         112
        .size:           8
        .value_kind:     by_value
      - .offset:         120
        .size:           8
        .value_kind:     by_value
      - .offset:         128
        .size:           4
        .value_kind:     by_value
      - .offset:         132
        .size:           4
        .value_kind:     by_value
      - .offset:         136
        .size:           1
        .value_kind:     by_value
    .group_segment_fixed_size: 768
    .kernarg_segment_align: 8
    .kernarg_segment_size: 140
    .language:       OpenCL C
    .language_version:
      - 2
      - 0
    .max_flat_workgroup_size: 64
    .name:           _ZN9rocsparseL31bsrmm_large_blockdim_kernel_extILj8ELj8ELj2EiiaaffEEvb20rocsparse_direction_T3_S2_llNS_24const_host_device_scalarIT7_EEPKT2_PKS2_PKT4_S2_PKT5_llS5_PT6_ll16rocsparse_order_21rocsparse_index_base_b
    .private_segment_fixed_size: 0
    .sgpr_count:     32
    .sgpr_spill_count: 0
    .symbol:         _ZN9rocsparseL31bsrmm_large_blockdim_kernel_extILj8ELj8ELj2EiiaaffEEvb20rocsparse_direction_T3_S2_llNS_24const_host_device_scalarIT7_EEPKT2_PKS2_PKT4_S2_PKT5_llS5_PT6_ll16rocsparse_order_21rocsparse_index_base_b.kd
    .uniform_work_group_size: 1
    .uses_dynamic_stack: false
    .vgpr_count:     26
    .vgpr_spill_count: 0
    .wavefront_size: 32
  - .args:
      - .offset:         0
        .size:           1
        .value_kind:     by_value
      - .offset:         4
        .size:           4
        .value_kind:     by_value
      - .offset:         8
        .size:           4
        .value_kind:     by_value
      - .offset:         12
        .size:           4
        .value_kind:     by_value
      - .offset:         16
        .size:           8
        .value_kind:     by_value
      - .offset:         24
        .size:           8
        .value_kind:     by_value
      - .offset:         32
        .size:           8
        .value_kind:     by_value
      - .actual_access:  read_only
        .address_space:  global
        .offset:         40
        .size:           8
        .value_kind:     global_buffer
      - .actual_access:  read_only
        .address_space:  global
        .offset:         48
        .size:           8
        .value_kind:     global_buffer
      - .actual_access:  read_only
        .address_space:  global
        .offset:         56
        .size:           8
        .value_kind:     global_buffer
      - .offset:         64
        .size:           4
        .value_kind:     by_value
      - .actual_access:  read_only
        .address_space:  global
        .offset:         72
        .size:           8
        .value_kind:     global_buffer
      - .offset:         80
        .size:           8
        .value_kind:     by_value
      - .offset:         88
        .size:           8
        .value_kind:     by_value
      - .offset:         96
        .size:           8
        .value_kind:     by_value
      - .address_space:  global
        .offset:         104
        .size:           8
        .value_kind:     global_buffer
      - .offset:         112
        .size:           8
        .value_kind:     by_value
      - .offset:         120
        .size:           8
        .value_kind:     by_value
      - .offset:         128
        .size:           4
        .value_kind:     by_value
      - .offset:         132
        .size:           4
        .value_kind:     by_value
      - .offset:         136
        .size:           1
        .value_kind:     by_value
    .group_segment_fixed_size: 576
    .kernarg_segment_align: 8
    .kernarg_segment_size: 140
    .language:       OpenCL C
    .language_version:
      - 2
      - 0
    .max_flat_workgroup_size: 64
    .name:           _ZN9rocsparseL31bsrmm_large_blockdim_kernel_extILj4ELj16ELj2EiiaaffEEvb20rocsparse_direction_T3_S2_llNS_24const_host_device_scalarIT7_EEPKT2_PKS2_PKT4_S2_PKT5_llS5_PT6_ll16rocsparse_order_21rocsparse_index_base_b
    .private_segment_fixed_size: 0
    .sgpr_count:     32
    .sgpr_spill_count: 0
    .symbol:         _ZN9rocsparseL31bsrmm_large_blockdim_kernel_extILj4ELj16ELj2EiiaaffEEvb20rocsparse_direction_T3_S2_llNS_24const_host_device_scalarIT7_EEPKT2_PKS2_PKT4_S2_PKT5_llS5_PT6_ll16rocsparse_order_21rocsparse_index_base_b.kd
    .uniform_work_group_size: 1
    .uses_dynamic_stack: false
    .vgpr_count:     26
    .vgpr_spill_count: 0
    .wavefront_size: 32
  - .args:
      - .offset:         0
        .size:           1
        .value_kind:     by_value
      - .offset:         4
        .size:           4
        .value_kind:     by_value
      - .offset:         8
        .size:           4
        .value_kind:     by_value
      - .offset:         12
        .size:           4
        .value_kind:     by_value
      - .offset:         16
        .size:           8
        .value_kind:     by_value
      - .offset:         24
        .size:           8
        .value_kind:     by_value
      - .offset:         32
        .size:           8
        .value_kind:     by_value
      - .actual_access:  read_only
        .address_space:  global
        .offset:         40
        .size:           8
        .value_kind:     global_buffer
      - .actual_access:  read_only
        .address_space:  global
        .offset:         48
        .size:           8
        .value_kind:     global_buffer
      - .actual_access:  read_only
        .address_space:  global
        .offset:         56
        .size:           8
        .value_kind:     global_buffer
      - .offset:         64
        .size:           4
        .value_kind:     by_value
      - .actual_access:  read_only
        .address_space:  global
        .offset:         72
        .size:           8
        .value_kind:     global_buffer
      - .offset:         80
        .size:           8
        .value_kind:     by_value
      - .offset:         88
        .size:           8
        .value_kind:     by_value
      - .offset:         96
        .size:           8
        .value_kind:     by_value
      - .address_space:  global
        .offset:         104
        .size:           8
        .value_kind:     global_buffer
      - .offset:         112
        .size:           8
        .value_kind:     by_value
      - .offset:         120
        .size:           8
        .value_kind:     by_value
      - .offset:         128
        .size:           4
        .value_kind:     by_value
      - .offset:         132
        .size:           4
        .value_kind:     by_value
      - .offset:         136
        .size:           1
        .value_kind:     by_value
    .group_segment_fixed_size: 3072
    .kernarg_segment_align: 8
    .kernarg_segment_size: 140
    .language:       OpenCL C
    .language_version:
      - 2
      - 0
    .max_flat_workgroup_size: 256
    .name:           _ZN9rocsparseL31bsrmm_large_blockdim_kernel_extILj16ELj16ELj2EiiaaffEEvb20rocsparse_direction_T3_S2_llNS_24const_host_device_scalarIT7_EEPKT2_PKS2_PKT4_S2_PKT5_llS5_PT6_ll16rocsparse_order_21rocsparse_index_base_b
    .private_segment_fixed_size: 0
    .sgpr_count:     32
    .sgpr_spill_count: 0
    .symbol:         _ZN9rocsparseL31bsrmm_large_blockdim_kernel_extILj16ELj16ELj2EiiaaffEEvb20rocsparse_direction_T3_S2_llNS_24const_host_device_scalarIT7_EEPKT2_PKS2_PKT4_S2_PKT5_llS5_PT6_ll16rocsparse_order_21rocsparse_index_base_b.kd
    .uniform_work_group_size: 1
    .uses_dynamic_stack: false
    .vgpr_count:     26
    .vgpr_spill_count: 0
    .wavefront_size: 32
  - .args:
      - .offset:         0
        .size:           1
        .value_kind:     by_value
      - .offset:         4
        .size:           4
        .value_kind:     by_value
      - .offset:         8
        .size:           4
        .value_kind:     by_value
      - .offset:         12
        .size:           4
        .value_kind:     by_value
      - .offset:         16
        .size:           8
        .value_kind:     by_value
      - .offset:         24
        .size:           8
        .value_kind:     by_value
      - .offset:         32
        .size:           8
        .value_kind:     by_value
      - .actual_access:  read_only
        .address_space:  global
        .offset:         40
        .size:           8
        .value_kind:     global_buffer
      - .actual_access:  read_only
        .address_space:  global
        .offset:         48
        .size:           8
        .value_kind:     global_buffer
      - .actual_access:  read_only
        .address_space:  global
        .offset:         56
        .size:           8
        .value_kind:     global_buffer
      - .offset:         64
        .size:           4
        .value_kind:     by_value
      - .actual_access:  read_only
        .address_space:  global
        .offset:         72
        .size:           8
        .value_kind:     global_buffer
      - .offset:         80
        .size:           8
        .value_kind:     by_value
      - .offset:         88
        .size:           8
        .value_kind:     by_value
      - .offset:         96
        .size:           8
        .value_kind:     by_value
      - .address_space:  global
        .offset:         104
        .size:           8
        .value_kind:     global_buffer
      - .offset:         112
        .size:           8
        .value_kind:     by_value
      - .offset:         120
        .size:           8
        .value_kind:     by_value
      - .offset:         128
        .size:           4
        .value_kind:     by_value
      - .offset:         132
        .size:           4
        .value_kind:     by_value
      - .offset:         136
        .size:           1
        .value_kind:     by_value
    .group_segment_fixed_size: 12288
    .kernarg_segment_align: 8
    .kernarg_segment_size: 140
    .language:       OpenCL C
    .language_version:
      - 2
      - 0
    .max_flat_workgroup_size: 1024
    .name:           _ZN9rocsparseL31bsrmm_large_blockdim_kernel_extILj32ELj32ELj2EiiaaffEEvb20rocsparse_direction_T3_S2_llNS_24const_host_device_scalarIT7_EEPKT2_PKS2_PKT4_S2_PKT5_llS5_PT6_ll16rocsparse_order_21rocsparse_index_base_b
    .private_segment_fixed_size: 0
    .sgpr_count:     32
    .sgpr_spill_count: 0
    .symbol:         _ZN9rocsparseL31bsrmm_large_blockdim_kernel_extILj32ELj32ELj2EiiaaffEEvb20rocsparse_direction_T3_S2_llNS_24const_host_device_scalarIT7_EEPKT2_PKS2_PKT4_S2_PKT5_llS5_PT6_ll16rocsparse_order_21rocsparse_index_base_b.kd
    .uniform_work_group_size: 1
    .uses_dynamic_stack: false
    .vgpr_count:     26
    .vgpr_spill_count: 0
    .wavefront_size: 32
  - .args:
      - .offset:         0
        .size:           1
        .value_kind:     by_value
      - .offset:         4
        .size:           4
        .value_kind:     by_value
      - .offset:         8
        .size:           4
        .value_kind:     by_value
      - .offset:         12
        .size:           4
        .value_kind:     by_value
      - .offset:         16
        .size:           8
        .value_kind:     by_value
      - .offset:         24
        .size:           8
        .value_kind:     by_value
      - .offset:         32
        .size:           8
        .value_kind:     by_value
      - .actual_access:  read_only
        .address_space:  global
        .offset:         40
        .size:           8
        .value_kind:     global_buffer
      - .actual_access:  read_only
        .address_space:  global
        .offset:         48
        .size:           8
        .value_kind:     global_buffer
      - .actual_access:  read_only
        .address_space:  global
        .offset:         56
        .size:           8
        .value_kind:     global_buffer
      - .offset:         64
        .size:           4
        .value_kind:     by_value
      - .actual_access:  read_only
        .address_space:  global
        .offset:         72
        .size:           8
        .value_kind:     global_buffer
      - .offset:         80
        .size:           8
        .value_kind:     by_value
      - .offset:         88
        .size:           8
        .value_kind:     by_value
      - .offset:         96
        .size:           8
        .value_kind:     by_value
      - .address_space:  global
        .offset:         104
        .size:           8
        .value_kind:     global_buffer
      - .offset:         112
        .size:           8
        .value_kind:     by_value
      - .offset:         120
        .size:           8
        .value_kind:     by_value
      - .offset:         128
        .size:           4
        .value_kind:     by_value
      - .offset:         132
        .size:           4
        .value_kind:     by_value
      - .offset:         136
        .size:           1
        .value_kind:     by_value
    .group_segment_fixed_size: 768
    .kernarg_segment_align: 8
    .kernarg_segment_size: 140
    .language:       OpenCL C
    .language_version:
      - 2
      - 0
    .max_flat_workgroup_size: 64
    .name:           _ZN9rocsparseL31bsrmm_large_blockdim_kernel_extILj8ELj8ELj2EliaaffEEvb20rocsparse_direction_T3_S2_llNS_24const_host_device_scalarIT7_EEPKT2_PKS2_PKT4_S2_PKT5_llS5_PT6_ll16rocsparse_order_21rocsparse_index_base_b
    .private_segment_fixed_size: 0
    .sgpr_count:     34
    .sgpr_spill_count: 0
    .symbol:         _ZN9rocsparseL31bsrmm_large_blockdim_kernel_extILj8ELj8ELj2EliaaffEEvb20rocsparse_direction_T3_S2_llNS_24const_host_device_scalarIT7_EEPKT2_PKS2_PKT4_S2_PKT5_llS5_PT6_ll16rocsparse_order_21rocsparse_index_base_b.kd
    .uniform_work_group_size: 1
    .uses_dynamic_stack: false
    .vgpr_count:     26
    .vgpr_spill_count: 0
    .wavefront_size: 32
  - .args:
      - .offset:         0
        .size:           1
        .value_kind:     by_value
      - .offset:         4
        .size:           4
        .value_kind:     by_value
      - .offset:         8
        .size:           4
        .value_kind:     by_value
      - .offset:         12
        .size:           4
        .value_kind:     by_value
      - .offset:         16
        .size:           8
        .value_kind:     by_value
      - .offset:         24
        .size:           8
        .value_kind:     by_value
      - .offset:         32
        .size:           8
        .value_kind:     by_value
      - .actual_access:  read_only
        .address_space:  global
        .offset:         40
        .size:           8
        .value_kind:     global_buffer
      - .actual_access:  read_only
        .address_space:  global
        .offset:         48
        .size:           8
        .value_kind:     global_buffer
      - .actual_access:  read_only
        .address_space:  global
        .offset:         56
        .size:           8
        .value_kind:     global_buffer
      - .offset:         64
        .size:           4
        .value_kind:     by_value
      - .actual_access:  read_only
        .address_space:  global
        .offset:         72
        .size:           8
        .value_kind:     global_buffer
      - .offset:         80
        .size:           8
        .value_kind:     by_value
      - .offset:         88
        .size:           8
        .value_kind:     by_value
      - .offset:         96
        .size:           8
        .value_kind:     by_value
      - .address_space:  global
        .offset:         104
        .size:           8
        .value_kind:     global_buffer
      - .offset:         112
        .size:           8
        .value_kind:     by_value
      - .offset:         120
        .size:           8
        .value_kind:     by_value
      - .offset:         128
        .size:           4
        .value_kind:     by_value
      - .offset:         132
        .size:           4
        .value_kind:     by_value
      - .offset:         136
        .size:           1
        .value_kind:     by_value
    .group_segment_fixed_size: 576
    .kernarg_segment_align: 8
    .kernarg_segment_size: 140
    .language:       OpenCL C
    .language_version:
      - 2
      - 0
    .max_flat_workgroup_size: 64
    .name:           _ZN9rocsparseL31bsrmm_large_blockdim_kernel_extILj4ELj16ELj2EliaaffEEvb20rocsparse_direction_T3_S2_llNS_24const_host_device_scalarIT7_EEPKT2_PKS2_PKT4_S2_PKT5_llS5_PT6_ll16rocsparse_order_21rocsparse_index_base_b
    .private_segment_fixed_size: 0
    .sgpr_count:     34
    .sgpr_spill_count: 0
    .symbol:         _ZN9rocsparseL31bsrmm_large_blockdim_kernel_extILj4ELj16ELj2EliaaffEEvb20rocsparse_direction_T3_S2_llNS_24const_host_device_scalarIT7_EEPKT2_PKS2_PKT4_S2_PKT5_llS5_PT6_ll16rocsparse_order_21rocsparse_index_base_b.kd
    .uniform_work_group_size: 1
    .uses_dynamic_stack: false
    .vgpr_count:     26
    .vgpr_spill_count: 0
    .wavefront_size: 32
  - .args:
      - .offset:         0
        .size:           1
        .value_kind:     by_value
      - .offset:         4
        .size:           4
        .value_kind:     by_value
      - .offset:         8
        .size:           4
        .value_kind:     by_value
      - .offset:         12
        .size:           4
        .value_kind:     by_value
      - .offset:         16
        .size:           8
        .value_kind:     by_value
      - .offset:         24
        .size:           8
        .value_kind:     by_value
      - .offset:         32
        .size:           8
        .value_kind:     by_value
      - .actual_access:  read_only
        .address_space:  global
        .offset:         40
        .size:           8
        .value_kind:     global_buffer
      - .actual_access:  read_only
        .address_space:  global
        .offset:         48
        .size:           8
        .value_kind:     global_buffer
      - .actual_access:  read_only
        .address_space:  global
        .offset:         56
        .size:           8
        .value_kind:     global_buffer
      - .offset:         64
        .size:           4
        .value_kind:     by_value
      - .actual_access:  read_only
        .address_space:  global
        .offset:         72
        .size:           8
        .value_kind:     global_buffer
      - .offset:         80
        .size:           8
        .value_kind:     by_value
      - .offset:         88
        .size:           8
        .value_kind:     by_value
      - .offset:         96
        .size:           8
        .value_kind:     by_value
      - .address_space:  global
        .offset:         104
        .size:           8
        .value_kind:     global_buffer
      - .offset:         112
        .size:           8
        .value_kind:     by_value
      - .offset:         120
        .size:           8
        .value_kind:     by_value
      - .offset:         128
        .size:           4
        .value_kind:     by_value
      - .offset:         132
        .size:           4
        .value_kind:     by_value
      - .offset:         136
        .size:           1
        .value_kind:     by_value
    .group_segment_fixed_size: 3072
    .kernarg_segment_align: 8
    .kernarg_segment_size: 140
    .language:       OpenCL C
    .language_version:
      - 2
      - 0
    .max_flat_workgroup_size: 256
    .name:           _ZN9rocsparseL31bsrmm_large_blockdim_kernel_extILj16ELj16ELj2EliaaffEEvb20rocsparse_direction_T3_S2_llNS_24const_host_device_scalarIT7_EEPKT2_PKS2_PKT4_S2_PKT5_llS5_PT6_ll16rocsparse_order_21rocsparse_index_base_b
    .private_segment_fixed_size: 0
    .sgpr_count:     34
    .sgpr_spill_count: 0
    .symbol:         _ZN9rocsparseL31bsrmm_large_blockdim_kernel_extILj16ELj16ELj2EliaaffEEvb20rocsparse_direction_T3_S2_llNS_24const_host_device_scalarIT7_EEPKT2_PKS2_PKT4_S2_PKT5_llS5_PT6_ll16rocsparse_order_21rocsparse_index_base_b.kd
    .uniform_work_group_size: 1
    .uses_dynamic_stack: false
    .vgpr_count:     26
    .vgpr_spill_count: 0
    .wavefront_size: 32
  - .args:
      - .offset:         0
        .size:           1
        .value_kind:     by_value
      - .offset:         4
        .size:           4
        .value_kind:     by_value
      - .offset:         8
        .size:           4
        .value_kind:     by_value
      - .offset:         12
        .size:           4
        .value_kind:     by_value
      - .offset:         16
        .size:           8
        .value_kind:     by_value
      - .offset:         24
        .size:           8
        .value_kind:     by_value
      - .offset:         32
        .size:           8
        .value_kind:     by_value
      - .actual_access:  read_only
        .address_space:  global
        .offset:         40
        .size:           8
        .value_kind:     global_buffer
      - .actual_access:  read_only
        .address_space:  global
        .offset:         48
        .size:           8
        .value_kind:     global_buffer
      - .actual_access:  read_only
        .address_space:  global
        .offset:         56
        .size:           8
        .value_kind:     global_buffer
      - .offset:         64
        .size:           4
        .value_kind:     by_value
      - .actual_access:  read_only
        .address_space:  global
        .offset:         72
        .size:           8
        .value_kind:     global_buffer
      - .offset:         80
        .size:           8
        .value_kind:     by_value
      - .offset:         88
        .size:           8
        .value_kind:     by_value
      - .offset:         96
        .size:           8
        .value_kind:     by_value
      - .address_space:  global
        .offset:         104
        .size:           8
        .value_kind:     global_buffer
      - .offset:         112
        .size:           8
        .value_kind:     by_value
      - .offset:         120
        .size:           8
        .value_kind:     by_value
      - .offset:         128
        .size:           4
        .value_kind:     by_value
      - .offset:         132
        .size:           4
        .value_kind:     by_value
      - .offset:         136
        .size:           1
        .value_kind:     by_value
    .group_segment_fixed_size: 12288
    .kernarg_segment_align: 8
    .kernarg_segment_size: 140
    .language:       OpenCL C
    .language_version:
      - 2
      - 0
    .max_flat_workgroup_size: 1024
    .name:           _ZN9rocsparseL31bsrmm_large_blockdim_kernel_extILj32ELj32ELj2EliaaffEEvb20rocsparse_direction_T3_S2_llNS_24const_host_device_scalarIT7_EEPKT2_PKS2_PKT4_S2_PKT5_llS5_PT6_ll16rocsparse_order_21rocsparse_index_base_b
    .private_segment_fixed_size: 0
    .sgpr_count:     34
    .sgpr_spill_count: 0
    .symbol:         _ZN9rocsparseL31bsrmm_large_blockdim_kernel_extILj32ELj32ELj2EliaaffEEvb20rocsparse_direction_T3_S2_llNS_24const_host_device_scalarIT7_EEPKT2_PKS2_PKT4_S2_PKT5_llS5_PT6_ll16rocsparse_order_21rocsparse_index_base_b.kd
    .uniform_work_group_size: 1
    .uses_dynamic_stack: false
    .vgpr_count:     26
    .vgpr_spill_count: 0
    .wavefront_size: 32
  - .args:
      - .offset:         0
        .size:           1
        .value_kind:     by_value
      - .offset:         4
        .size:           4
        .value_kind:     by_value
      - .offset:         8
        .size:           8
        .value_kind:     by_value
      - .offset:         16
        .size:           8
        .value_kind:     by_value
      - .offset:         24
        .size:           8
        .value_kind:     by_value
      - .offset:         32
        .size:           8
        .value_kind:     by_value
      - .offset:         40
        .size:           8
        .value_kind:     by_value
      - .actual_access:  read_only
        .address_space:  global
        .offset:         48
        .size:           8
        .value_kind:     global_buffer
      - .actual_access:  read_only
        .address_space:  global
        .offset:         56
        .size:           8
        .value_kind:     global_buffer
      - .actual_access:  read_only
        .address_space:  global
        .offset:         64
        .size:           8
        .value_kind:     global_buffer
      - .offset:         72
        .size:           8
        .value_kind:     by_value
      - .actual_access:  read_only
        .address_space:  global
        .offset:         80
        .size:           8
        .value_kind:     global_buffer
      - .offset:         88
        .size:           8
        .value_kind:     by_value
      - .offset:         96
        .size:           8
        .value_kind:     by_value
      - .offset:         104
        .size:           8
        .value_kind:     by_value
      - .address_space:  global
        .offset:         112
        .size:           8
        .value_kind:     global_buffer
      - .offset:         120
        .size:           8
        .value_kind:     by_value
      - .offset:         128
        .size:           8
        .value_kind:     by_value
      - .offset:         136
        .size:           4
        .value_kind:     by_value
      - .offset:         140
        .size:           4
        .value_kind:     by_value
      - .offset:         144
        .size:           1
        .value_kind:     by_value
    .group_segment_fixed_size: 768
    .kernarg_segment_align: 8
    .kernarg_segment_size: 148
    .language:       OpenCL C
    .language_version:
      - 2
      - 0
    .max_flat_workgroup_size: 64
    .name:           _ZN9rocsparseL31bsrmm_large_blockdim_kernel_extILj8ELj8ELj2EllaaffEEvb20rocsparse_direction_T3_S2_llNS_24const_host_device_scalarIT7_EEPKT2_PKS2_PKT4_S2_PKT5_llS5_PT6_ll16rocsparse_order_21rocsparse_index_base_b
    .private_segment_fixed_size: 0
    .sgpr_count:     41
    .sgpr_spill_count: 0
    .symbol:         _ZN9rocsparseL31bsrmm_large_blockdim_kernel_extILj8ELj8ELj2EllaaffEEvb20rocsparse_direction_T3_S2_llNS_24const_host_device_scalarIT7_EEPKT2_PKS2_PKT4_S2_PKT5_llS5_PT6_ll16rocsparse_order_21rocsparse_index_base_b.kd
    .uniform_work_group_size: 1
    .uses_dynamic_stack: false
    .vgpr_count:     30
    .vgpr_spill_count: 0
    .wavefront_size: 32
  - .args:
      - .offset:         0
        .size:           1
        .value_kind:     by_value
      - .offset:         4
        .size:           4
        .value_kind:     by_value
      - .offset:         8
        .size:           8
        .value_kind:     by_value
      - .offset:         16
        .size:           8
        .value_kind:     by_value
      - .offset:         24
        .size:           8
        .value_kind:     by_value
      - .offset:         32
        .size:           8
        .value_kind:     by_value
      - .offset:         40
        .size:           8
        .value_kind:     by_value
      - .actual_access:  read_only
        .address_space:  global
        .offset:         48
        .size:           8
        .value_kind:     global_buffer
      - .actual_access:  read_only
        .address_space:  global
        .offset:         56
        .size:           8
        .value_kind:     global_buffer
      - .actual_access:  read_only
        .address_space:  global
        .offset:         64
        .size:           8
        .value_kind:     global_buffer
      - .offset:         72
        .size:           8
        .value_kind:     by_value
      - .actual_access:  read_only
        .address_space:  global
        .offset:         80
        .size:           8
        .value_kind:     global_buffer
      - .offset:         88
        .size:           8
        .value_kind:     by_value
      - .offset:         96
        .size:           8
        .value_kind:     by_value
      - .offset:         104
        .size:           8
        .value_kind:     by_value
      - .address_space:  global
        .offset:         112
        .size:           8
        .value_kind:     global_buffer
      - .offset:         120
        .size:           8
        .value_kind:     by_value
      - .offset:         128
        .size:           8
        .value_kind:     by_value
      - .offset:         136
        .size:           4
        .value_kind:     by_value
      - .offset:         140
        .size:           4
        .value_kind:     by_value
      - .offset:         144
        .size:           1
        .value_kind:     by_value
    .group_segment_fixed_size: 576
    .kernarg_segment_align: 8
    .kernarg_segment_size: 148
    .language:       OpenCL C
    .language_version:
      - 2
      - 0
    .max_flat_workgroup_size: 64
    .name:           _ZN9rocsparseL31bsrmm_large_blockdim_kernel_extILj4ELj16ELj2EllaaffEEvb20rocsparse_direction_T3_S2_llNS_24const_host_device_scalarIT7_EEPKT2_PKS2_PKT4_S2_PKT5_llS5_PT6_ll16rocsparse_order_21rocsparse_index_base_b
    .private_segment_fixed_size: 0
    .sgpr_count:     41
    .sgpr_spill_count: 0
    .symbol:         _ZN9rocsparseL31bsrmm_large_blockdim_kernel_extILj4ELj16ELj2EllaaffEEvb20rocsparse_direction_T3_S2_llNS_24const_host_device_scalarIT7_EEPKT2_PKS2_PKT4_S2_PKT5_llS5_PT6_ll16rocsparse_order_21rocsparse_index_base_b.kd
    .uniform_work_group_size: 1
    .uses_dynamic_stack: false
    .vgpr_count:     30
    .vgpr_spill_count: 0
    .wavefront_size: 32
  - .args:
      - .offset:         0
        .size:           1
        .value_kind:     by_value
      - .offset:         4
        .size:           4
        .value_kind:     by_value
      - .offset:         8
        .size:           8
        .value_kind:     by_value
      - .offset:         16
        .size:           8
        .value_kind:     by_value
      - .offset:         24
        .size:           8
        .value_kind:     by_value
      - .offset:         32
        .size:           8
        .value_kind:     by_value
      - .offset:         40
        .size:           8
        .value_kind:     by_value
      - .actual_access:  read_only
        .address_space:  global
        .offset:         48
        .size:           8
        .value_kind:     global_buffer
      - .actual_access:  read_only
        .address_space:  global
        .offset:         56
        .size:           8
        .value_kind:     global_buffer
      - .actual_access:  read_only
        .address_space:  global
        .offset:         64
        .size:           8
        .value_kind:     global_buffer
      - .offset:         72
        .size:           8
        .value_kind:     by_value
      - .actual_access:  read_only
        .address_space:  global
        .offset:         80
        .size:           8
        .value_kind:     global_buffer
      - .offset:         88
        .size:           8
        .value_kind:     by_value
      - .offset:         96
        .size:           8
        .value_kind:     by_value
      - .offset:         104
        .size:           8
        .value_kind:     by_value
      - .address_space:  global
        .offset:         112
        .size:           8
        .value_kind:     global_buffer
      - .offset:         120
        .size:           8
        .value_kind:     by_value
      - .offset:         128
        .size:           8
        .value_kind:     by_value
      - .offset:         136
        .size:           4
        .value_kind:     by_value
      - .offset:         140
        .size:           4
        .value_kind:     by_value
      - .offset:         144
        .size:           1
        .value_kind:     by_value
    .group_segment_fixed_size: 3072
    .kernarg_segment_align: 8
    .kernarg_segment_size: 148
    .language:       OpenCL C
    .language_version:
      - 2
      - 0
    .max_flat_workgroup_size: 256
    .name:           _ZN9rocsparseL31bsrmm_large_blockdim_kernel_extILj16ELj16ELj2EllaaffEEvb20rocsparse_direction_T3_S2_llNS_24const_host_device_scalarIT7_EEPKT2_PKS2_PKT4_S2_PKT5_llS5_PT6_ll16rocsparse_order_21rocsparse_index_base_b
    .private_segment_fixed_size: 0
    .sgpr_count:     41
    .sgpr_spill_count: 0
    .symbol:         _ZN9rocsparseL31bsrmm_large_blockdim_kernel_extILj16ELj16ELj2EllaaffEEvb20rocsparse_direction_T3_S2_llNS_24const_host_device_scalarIT7_EEPKT2_PKS2_PKT4_S2_PKT5_llS5_PT6_ll16rocsparse_order_21rocsparse_index_base_b.kd
    .uniform_work_group_size: 1
    .uses_dynamic_stack: false
    .vgpr_count:     30
    .vgpr_spill_count: 0
    .wavefront_size: 32
  - .args:
      - .offset:         0
        .size:           1
        .value_kind:     by_value
      - .offset:         4
        .size:           4
        .value_kind:     by_value
      - .offset:         8
        .size:           8
        .value_kind:     by_value
      - .offset:         16
        .size:           8
        .value_kind:     by_value
      - .offset:         24
        .size:           8
        .value_kind:     by_value
      - .offset:         32
        .size:           8
        .value_kind:     by_value
      - .offset:         40
        .size:           8
        .value_kind:     by_value
      - .actual_access:  read_only
        .address_space:  global
        .offset:         48
        .size:           8
        .value_kind:     global_buffer
      - .actual_access:  read_only
        .address_space:  global
        .offset:         56
        .size:           8
        .value_kind:     global_buffer
      - .actual_access:  read_only
        .address_space:  global
        .offset:         64
        .size:           8
        .value_kind:     global_buffer
      - .offset:         72
        .size:           8
        .value_kind:     by_value
      - .actual_access:  read_only
        .address_space:  global
        .offset:         80
        .size:           8
        .value_kind:     global_buffer
      - .offset:         88
        .size:           8
        .value_kind:     by_value
      - .offset:         96
        .size:           8
        .value_kind:     by_value
      - .offset:         104
        .size:           8
        .value_kind:     by_value
      - .address_space:  global
        .offset:         112
        .size:           8
        .value_kind:     global_buffer
      - .offset:         120
        .size:           8
        .value_kind:     by_value
      - .offset:         128
        .size:           8
        .value_kind:     by_value
      - .offset:         136
        .size:           4
        .value_kind:     by_value
      - .offset:         140
        .size:           4
        .value_kind:     by_value
      - .offset:         144
        .size:           1
        .value_kind:     by_value
    .group_segment_fixed_size: 12288
    .kernarg_segment_align: 8
    .kernarg_segment_size: 148
    .language:       OpenCL C
    .language_version:
      - 2
      - 0
    .max_flat_workgroup_size: 1024
    .name:           _ZN9rocsparseL31bsrmm_large_blockdim_kernel_extILj32ELj32ELj2EllaaffEEvb20rocsparse_direction_T3_S2_llNS_24const_host_device_scalarIT7_EEPKT2_PKS2_PKT4_S2_PKT5_llS5_PT6_ll16rocsparse_order_21rocsparse_index_base_b
    .private_segment_fixed_size: 0
    .sgpr_count:     41
    .sgpr_spill_count: 0
    .symbol:         _ZN9rocsparseL31bsrmm_large_blockdim_kernel_extILj32ELj32ELj2EllaaffEEvb20rocsparse_direction_T3_S2_llNS_24const_host_device_scalarIT7_EEPKT2_PKS2_PKT4_S2_PKT5_llS5_PT6_ll16rocsparse_order_21rocsparse_index_base_b.kd
    .uniform_work_group_size: 1
    .uses_dynamic_stack: false
    .vgpr_count:     30
    .vgpr_spill_count: 0
    .wavefront_size: 32
amdhsa.target:   amdgcn-amd-amdhsa--gfx1250
amdhsa.version:
  - 1
  - 2
...

	.end_amdgpu_metadata
